;; amdgpu-corpus repo=ROCm/rocFFT kind=compiled arch=gfx906 opt=O3
	.text
	.amdgcn_target "amdgcn-amd-amdhsa--gfx906"
	.amdhsa_code_object_version 6
	.protected	bluestein_single_fwd_len1815_dim1_half_op_CI_CI ; -- Begin function bluestein_single_fwd_len1815_dim1_half_op_CI_CI
	.globl	bluestein_single_fwd_len1815_dim1_half_op_CI_CI
	.p2align	8
	.type	bluestein_single_fwd_len1815_dim1_half_op_CI_CI,@function
bluestein_single_fwd_len1815_dim1_half_op_CI_CI: ; @bluestein_single_fwd_len1815_dim1_half_op_CI_CI
; %bb.0:
	s_load_dwordx4 s[16:19], s[4:5], 0x28
	v_mul_u32_u24_e32 v1, 0x18e, v0
	v_add_u32_sdwa v20, s6, v1 dst_sel:DWORD dst_unused:UNUSED_PAD src0_sel:DWORD src1_sel:WORD_1
	v_mov_b32_e32 v21, 0
	s_waitcnt lgkmcnt(0)
	v_cmp_gt_u64_e32 vcc, s[16:17], v[20:21]
	s_and_saveexec_b64 s[0:1], vcc
	s_cbranch_execz .LBB0_18
; %bb.1:
	s_load_dwordx4 s[0:3], s[4:5], 0x18
	s_load_dwordx4 s[12:15], s[4:5], 0x0
	s_mov_b32 s20, 0xb853
	s_mov_b32 s16, 0xb93d
	;; [unrolled: 1-line block ×3, first 2 shown]
	s_waitcnt lgkmcnt(0)
	s_load_dwordx4 s[8:11], s[0:1], 0x0
	s_movk_i32 s0, 0xa5
	v_mul_lo_u16_sdwa v1, v1, s0 dst_sel:DWORD dst_unused:UNUSED_PAD src0_sel:WORD_1 src1_sel:DWORD
	v_sub_u16_e32 v47, v0, v1
	v_lshlrev_b32_e32 v37, 2, v47
	s_waitcnt lgkmcnt(0)
	v_mad_u64_u32 v[0:1], s[0:1], s10, v20, 0
	v_mad_u64_u32 v[2:3], s[0:1], s8, v47, 0
	s_mul_i32 s6, s9, 0x294
	s_mul_hi_u32 s7, s8, 0x294
	v_mad_u64_u32 v[4:5], s[0:1], s11, v20, v[1:2]
	s_add_i32 s6, s7, s6
	s_mul_i32 s7, s8, 0x294
	v_mad_u64_u32 v[5:6], s[0:1], s9, v47, v[3:4]
	v_mov_b32_e32 v1, v4
	v_lshlrev_b64 v[0:1], 2, v[0:1]
	v_mov_b32_e32 v6, s19
	v_mov_b32_e32 v3, v5
	v_add_co_u32_e32 v4, vcc, s18, v0
	v_addc_co_u32_e32 v5, vcc, v6, v1, vcc
	v_lshlrev_b64 v[0:1], 2, v[2:3]
	v_mov_b32_e32 v2, s13
	v_add_co_u32_e32 v0, vcc, v4, v0
	v_add_co_u32_e64 v31, s[0:1], s12, v37
	v_addc_co_u32_e32 v1, vcc, v5, v1, vcc
	v_addc_co_u32_e64 v4, vcc, 0, v2, s[0:1]
	v_mov_b32_e32 v3, s6
	v_add_co_u32_e32 v2, vcc, s7, v0
	v_addc_co_u32_e32 v3, vcc, v1, v3, vcc
	global_load_dword v5, v[0:1], off
	global_load_dword v6, v[2:3], off
	global_load_dword v49, v37, s[12:13]
	global_load_dword v48, v37, s[12:13] offset:660
	v_mov_b32_e32 v1, s6
	v_add_co_u32_e32 v0, vcc, s7, v2
	v_addc_co_u32_e32 v1, vcc, v3, v1, vcc
	v_mov_b32_e32 v3, s6
	v_add_co_u32_e32 v2, vcc, s7, v0
	v_addc_co_u32_e32 v3, vcc, v1, v3, vcc
	global_load_dword v7, v[0:1], off
	global_load_dword v8, v[2:3], off
	global_load_dword v46, v37, s[12:13] offset:1320
	global_load_dword v45, v37, s[12:13] offset:1980
	v_mov_b32_e32 v1, s6
	v_add_co_u32_e32 v0, vcc, s7, v2
	v_addc_co_u32_e32 v1, vcc, v3, v1, vcc
	global_load_dword v9, v[0:1], off
	global_load_dword v44, v37, s[12:13] offset:2640
	v_mov_b32_e32 v2, s6
	v_add_co_u32_e32 v0, vcc, s7, v0
	v_addc_co_u32_e32 v1, vcc, v1, v2, vcc
	global_load_dword v10, v[0:1], off
	v_add_co_u32_e32 v0, vcc, s7, v0
	v_addc_co_u32_e32 v1, vcc, v1, v2, vcc
	global_load_dword v43, v37, s[12:13] offset:3300
	global_load_dword v11, v[0:1], off
	global_load_dword v42, v37, s[12:13] offset:3960
	v_add_co_u32_e32 v0, vcc, s7, v0
	v_addc_co_u32_e32 v1, vcc, v1, v2, vcc
	s_movk_i32 s8, 0x1000
	v_add_co_u32_e32 v2, vcc, s8, v31
	global_load_dword v12, v[0:1], off
	v_addc_co_u32_e32 v3, vcc, 0, v4, vcc
	global_load_dword v41, v[2:3], off offset:524
	v_mov_b32_e32 v4, s6
	v_add_co_u32_e32 v0, vcc, s7, v0
	v_addc_co_u32_e32 v1, vcc, v1, v4, vcc
	global_load_dword v4, v[0:1], off
	global_load_dword v40, v[2:3], off offset:1184
	v_mov_b32_e32 v13, s6
	v_add_co_u32_e32 v0, vcc, s7, v0
	v_addc_co_u32_e32 v1, vcc, v1, v13, vcc
	global_load_dword v13, v[0:1], off
	;; [unrolled: 5-line block ×3, first 2 shown]
	global_load_dword v38, v[2:3], off offset:2504
	s_load_dwordx2 s[6:7], s[4:5], 0x38
	s_load_dwordx4 s[8:11], s[2:3], 0x0
	s_movk_i32 s3, 0x3abb
	s_mov_b32 s2, 0x3abb36a6
	s_mov_b32 s19, 0xffff
	s_movk_i32 s5, 0x36a6
	s_mov_b32 s4, 0xb08e
	s_mov_b32 s12, 0xba0c
	;; [unrolled: 1-line block ×4, first 2 shown]
	s_waitcnt vmcnt(21)
	v_lshrrev_b32_e32 v0, 16, v5
	s_waitcnt vmcnt(19)
	v_mul_f16_sdwa v1, v49, v0 dst_sel:DWORD dst_unused:UNUSED_PAD src0_sel:WORD_1 src1_sel:DWORD
	v_mul_f16_sdwa v2, v49, v5 dst_sel:DWORD dst_unused:UNUSED_PAD src0_sel:WORD_1 src1_sel:DWORD
	v_fma_f16 v1, v49, v5, v1
	v_fma_f16 v0, v49, v0, -v2
	v_pack_b32_f16 v0, v1, v0
	v_lshrrev_b32_e32 v1, 16, v6
	s_waitcnt vmcnt(18)
	v_mul_f16_sdwa v2, v48, v1 dst_sel:DWORD dst_unused:UNUSED_PAD src0_sel:WORD_1 src1_sel:DWORD
	v_mul_f16_sdwa v3, v48, v6 dst_sel:DWORD dst_unused:UNUSED_PAD src0_sel:WORD_1 src1_sel:DWORD
	v_fma_f16 v2, v48, v6, v2
	v_fma_f16 v1, v48, v1, -v3
	v_pack_b32_f16 v1, v2, v1
	ds_write2_b32 v37, v0, v1 offset1:165
	s_waitcnt vmcnt(17)
	v_lshrrev_b32_e32 v0, 16, v7
	s_waitcnt vmcnt(15)
	v_mul_f16_sdwa v1, v46, v0 dst_sel:DWORD dst_unused:UNUSED_PAD src0_sel:WORD_1 src1_sel:DWORD
	v_mul_f16_sdwa v2, v46, v7 dst_sel:DWORD dst_unused:UNUSED_PAD src0_sel:WORD_1 src1_sel:DWORD
	v_fma_f16 v1, v46, v7, v1
	v_fma_f16 v0, v46, v0, -v2
	v_pack_b32_f16 v0, v1, v0
	v_lshrrev_b32_e32 v1, 16, v8
	s_waitcnt vmcnt(14)
	v_mul_f16_sdwa v2, v45, v1 dst_sel:DWORD dst_unused:UNUSED_PAD src0_sel:WORD_1 src1_sel:DWORD
	v_mul_f16_sdwa v3, v45, v8 dst_sel:DWORD dst_unused:UNUSED_PAD src0_sel:WORD_1 src1_sel:DWORD
	v_fma_f16 v2, v45, v8, v2
	v_fma_f16 v1, v45, v1, -v3
	v_pack_b32_f16 v1, v2, v1
	v_add_u32_e32 v2, 0x400, v37
	ds_write2_b32 v2, v0, v1 offset0:74 offset1:239
	s_waitcnt vmcnt(13)
	v_lshrrev_b32_e32 v0, 16, v9
	s_waitcnt vmcnt(12)
	v_mul_f16_sdwa v1, v44, v0 dst_sel:DWORD dst_unused:UNUSED_PAD src0_sel:WORD_1 src1_sel:DWORD
	v_mul_f16_sdwa v3, v44, v9 dst_sel:DWORD dst_unused:UNUSED_PAD src0_sel:WORD_1 src1_sel:DWORD
	v_fma_f16 v1, v44, v9, v1
	v_fma_f16 v0, v44, v0, -v3
	v_pack_b32_f16 v0, v1, v0
	s_waitcnt vmcnt(11)
	v_lshrrev_b32_e32 v1, 16, v10
	s_waitcnt vmcnt(10)
	v_mul_f16_sdwa v3, v43, v1 dst_sel:DWORD dst_unused:UNUSED_PAD src0_sel:WORD_1 src1_sel:DWORD
	v_mul_f16_sdwa v5, v43, v10 dst_sel:DWORD dst_unused:UNUSED_PAD src0_sel:WORD_1 src1_sel:DWORD
	v_fma_f16 v3, v43, v10, v3
	v_fma_f16 v1, v43, v1, -v5
	v_pack_b32_f16 v1, v3, v1
	v_add_u32_e32 v3, 0xa00, v37
	ds_write2_b32 v3, v0, v1 offset0:20 offset1:185
	s_waitcnt vmcnt(9)
	v_lshrrev_b32_e32 v0, 16, v11
	s_waitcnt vmcnt(8)
	v_mul_f16_sdwa v1, v42, v0 dst_sel:DWORD dst_unused:UNUSED_PAD src0_sel:WORD_1 src1_sel:DWORD
	v_mul_f16_sdwa v5, v42, v11 dst_sel:DWORD dst_unused:UNUSED_PAD src0_sel:WORD_1 src1_sel:DWORD
	v_fma_f16 v1, v42, v11, v1
	v_fma_f16 v0, v42, v0, -v5
	v_pack_b32_f16 v0, v1, v0
	s_waitcnt vmcnt(7)
	v_lshrrev_b32_e32 v1, 16, v12
	s_waitcnt vmcnt(6)
	v_mul_f16_sdwa v5, v41, v1 dst_sel:DWORD dst_unused:UNUSED_PAD src0_sel:WORD_1 src1_sel:DWORD
	v_mul_f16_sdwa v6, v41, v12 dst_sel:DWORD dst_unused:UNUSED_PAD src0_sel:WORD_1 src1_sel:DWORD
	v_fma_f16 v5, v41, v12, v5
	v_fma_f16 v1, v41, v1, -v6
	v_pack_b32_f16 v1, v5, v1
	v_add_u32_e32 v5, 0xf00, v37
	ds_write2_b32 v5, v0, v1 offset0:30 offset1:195
	s_waitcnt vmcnt(5)
	v_lshrrev_b32_e32 v0, 16, v4
	s_waitcnt vmcnt(4)
	v_mul_f16_sdwa v1, v40, v0 dst_sel:DWORD dst_unused:UNUSED_PAD src0_sel:WORD_1 src1_sel:DWORD
	v_fma_f16 v1, v40, v4, v1
	v_mul_f16_sdwa v4, v40, v4 dst_sel:DWORD dst_unused:UNUSED_PAD src0_sel:WORD_1 src1_sel:DWORD
	v_fma_f16 v0, v40, v0, -v4
	v_pack_b32_f16 v0, v1, v0
	s_waitcnt vmcnt(3)
	v_lshrrev_b32_e32 v1, 16, v13
	s_waitcnt vmcnt(2)
	v_mul_f16_sdwa v4, v39, v1 dst_sel:DWORD dst_unused:UNUSED_PAD src0_sel:WORD_1 src1_sel:DWORD
	v_mul_f16_sdwa v6, v39, v13 dst_sel:DWORD dst_unused:UNUSED_PAD src0_sel:WORD_1 src1_sel:DWORD
	v_fma_f16 v4, v39, v13, v4
	v_fma_f16 v1, v39, v1, -v6
	v_pack_b32_f16 v1, v4, v1
	v_add_u32_e32 v4, 0x1400, v37
	ds_write2_b32 v4, v0, v1 offset0:40 offset1:205
	s_waitcnt vmcnt(1)
	v_lshrrev_b32_e32 v0, 16, v14
	s_waitcnt vmcnt(0)
	v_mul_f16_sdwa v1, v38, v0 dst_sel:DWORD dst_unused:UNUSED_PAD src0_sel:WORD_1 src1_sel:DWORD
	v_mul_f16_sdwa v6, v38, v14 dst_sel:DWORD dst_unused:UNUSED_PAD src0_sel:WORD_1 src1_sel:DWORD
	v_fma_f16 v1, v38, v14, v1
	v_fma_f16 v0, v38, v0, -v6
	v_pack_b32_f16 v0, v1, v0
	ds_write_b32 v37, v0 offset:6600
	v_mul_lo_u16_e32 v0, 11, v47
	s_waitcnt lgkmcnt(0)
	s_barrier
	v_lshlrev_b32_e32 v32, 2, v0
	ds_read2_b32 v[0:1], v37 offset1:165
	ds_read2_b32 v[6:7], v2 offset0:74 offset1:239
	ds_read2_b32 v[8:9], v3 offset0:20 offset1:185
	;; [unrolled: 1-line block ×4, first 2 shown]
	ds_read_b32 v2, v37 offset:6600
	s_waitcnt lgkmcnt(5)
	v_pk_add_f16 v3, v0, v1
	s_waitcnt lgkmcnt(4)
	v_pk_add_f16 v3, v3, v6
	v_pk_add_f16 v3, v3, v7
	s_waitcnt lgkmcnt(3)
	v_pk_add_f16 v3, v3, v8
	;; [unrolled: 3-line block ×5, first 2 shown]
	s_barrier
	ds_write_b32 v32, v3
	v_pk_add_f16 v3, v2, v1
	v_pk_add_f16 v2, v1, v2 neg_lo:[0,1] neg_hi:[0,1]
	v_mul_f16_sdwa v1, v2, s20 dst_sel:DWORD dst_unused:UNUSED_PAD src0_sel:WORD_1 src1_sel:DWORD
	v_fma_f16 v4, v3, s3, -v1
	v_add_f16_e32 v14, v0, v4
	v_pk_mul_f16 v4, v3, s2
	s_mov_b32 s2, 0xbb47b853
	v_pk_fma_f16 v16, v2, s2, v4 op_sel:[0,0,1] op_sel_hi:[1,1,0] neg_lo:[1,0,0] neg_hi:[1,0,0]
	v_pk_fma_f16 v17, v2, s2, v4 op_sel:[0,0,1] op_sel_hi:[1,1,0]
	v_bfi_b32 v4, s19, v17, v16
	v_pk_add_f16 v18, v0, v4 op_sel:[1,0] op_sel_hi:[0,1]
	v_lshrrev_b32_e32 v4, 16, v3
	v_mul_f16_e32 v5, 0xbb47, v2
	v_fma_f16 v19, v4, s5, v5
	v_fma_f16 v5, v4, s5, -v5
	s_mov_b32 s2, 0xbbeb
	v_add_f16_sdwa v21, v0, v5 dst_sel:DWORD dst_unused:UNUSED_PAD src0_sel:WORD_1 src1_sel:DWORD
	v_mul_f16_sdwa v5, v2, s2 dst_sel:DWORD dst_unused:UNUSED_PAD src0_sel:WORD_1 src1_sel:DWORD
	v_fma_f16 v22, v3, s4, -v5
	v_mul_f16_e32 v23, 0xbbeb, v2
	v_fma_f16 v5, v3, s4, v5
	v_add_f16_e32 v25, v0, v5
	v_fma_f16 v5, v4, s4, -v23
	v_mul_f16_e32 v27, 0xba0c, v2
	v_fma_f16 v24, v4, s4, v23
	v_add_f16_sdwa v23, v0, v5 dst_sel:DWORD dst_unused:UNUSED_PAD src0_sel:WORD_1 src1_sel:DWORD
	v_mul_f16_sdwa v5, v2, s12 dst_sel:DWORD dst_unused:UNUSED_PAD src0_sel:WORD_1 src1_sel:DWORD
	v_fma_f16 v28, v4, s16, v27
	v_fma_f16 v4, v4, s16, -v27
	v_fma_f16 v26, v3, s16, -v5
	v_fma_f16 v5, v3, s16, v5
	v_add_f16_sdwa v27, v0, v4 dst_sel:DWORD dst_unused:UNUSED_PAD src0_sel:WORD_1 src1_sel:DWORD
	v_pk_add_f16 v4, v6, v13 neg_lo:[0,1] neg_hi:[0,1]
	v_add_f16_e32 v29, v0, v5
	v_pk_add_f16 v5, v13, v6
	v_mul_f16_sdwa v6, v4, s17 dst_sel:DWORD dst_unused:UNUSED_PAD src0_sel:WORD_1 src1_sel:DWORD
	v_fma_f16 v1, v3, s3, v1
	v_fma_f16 v13, v5, s5, -v6
	s_mov_b32 s17, 0x36a6b93d
	v_add_f16_e32 v15, v0, v1
	v_add_f16_e32 v13, v13, v14
	v_fma_f16 v6, v5, s5, v6
	v_pk_mul_f16 v14, v5, s17
	s_mov_b32 s17, 0xba0cbb47
	v_add_f16_e32 v6, v6, v15
	v_pk_fma_f16 v15, v4, s17, v14 op_sel:[0,0,1] op_sel_hi:[1,1,0] neg_lo:[1,0,0] neg_hi:[1,0,0]
	v_pk_fma_f16 v14, v4, s17, v14 op_sel:[0,0,1] op_sel_hi:[1,1,0]
	v_bfi_b32 v30, s19, v14, v15
	v_pk_add_f16 v18, v30, v18
	v_lshrrev_b32_e32 v30, 16, v5
	v_mul_f16_e32 v33, 0xba0c, v4
	v_fma_f16 v34, v30, s16, v33
	v_fma_f16 v33, v30, s16, -v33
	s_movk_i32 s17, 0x3482
	v_add_f16_sdwa v19, v0, v19 dst_sel:DWORD dst_unused:UNUSED_PAD src0_sel:WORD_1 src1_sel:DWORD
	v_add_f16_e32 v21, v33, v21
	v_mul_f16_sdwa v33, v4, s17 dst_sel:DWORD dst_unused:UNUSED_PAD src0_sel:WORD_1 src1_sel:DWORD
	v_add_f16_e32 v22, v0, v22
	v_add_f16_e32 v19, v34, v19
	v_fma_f16 v34, v5, s18, -v33
	v_add_f16_e32 v22, v34, v22
	v_mul_f16_e32 v34, 0x3482, v4
	v_fma_f16 v33, v5, s18, v33
	v_add_f16_e32 v25, v33, v25
	v_fma_f16 v33, v30, s18, -v34
	s_movk_i32 s17, 0x3beb
	v_add_f16_e32 v23, v33, v23
	v_mul_f16_sdwa v33, v4, s17 dst_sel:DWORD dst_unused:UNUSED_PAD src0_sel:WORD_1 src1_sel:DWORD
	v_add_f16_e32 v26, v0, v26
	v_fma_f16 v35, v30, s18, v34
	v_fma_f16 v34, v5, s4, -v33
	v_add_f16_sdwa v24, v0, v24 dst_sel:DWORD dst_unused:UNUSED_PAD src0_sel:WORD_1 src1_sel:DWORD
	v_add_f16_e32 v26, v34, v26
	v_mul_f16_e32 v34, 0x3beb, v4
	v_add_f16_e32 v24, v35, v24
	v_fma_f16 v35, v30, s4, v34
	v_fma_f16 v30, v30, s4, -v34
	v_add_f16_e32 v27, v30, v27
	v_pk_add_f16 v30, v12, v7
	v_pk_add_f16 v12, v7, v12 neg_lo:[0,1] neg_hi:[0,1]
	v_fma_f16 v33, v5, s4, v33
	v_mul_f16_sdwa v7, v12, s2 dst_sel:DWORD dst_unused:UNUSED_PAD src0_sel:WORD_1 src1_sel:DWORD
	v_add_f16_e32 v29, v33, v29
	v_fma_f16 v33, v30, s4, -v7
	v_fma_f16 v7, v30, s4, v7
	s_mov_b32 s17, 0xb08ebbad
	v_add_f16_e32 v6, v7, v6
	v_pk_mul_f16 v7, v30, s17
	s_mov_b32 s17, 0x3482bbeb
	v_add_f16_e32 v13, v33, v13
	v_pk_fma_f16 v33, v12, s17, v7 op_sel:[0,0,1] op_sel_hi:[1,1,0] neg_lo:[1,0,0] neg_hi:[1,0,0]
	v_pk_fma_f16 v7, v12, s17, v7 op_sel:[0,0,1] op_sel_hi:[1,1,0]
	v_add_f16_sdwa v28, v0, v28 dst_sel:DWORD dst_unused:UNUSED_PAD src0_sel:WORD_1 src1_sel:DWORD
	v_bfi_b32 v34, s19, v7, v33
	v_add_f16_e32 v28, v35, v28
	v_pk_add_f16 v18, v34, v18
	v_lshrrev_b32_e32 v34, 16, v30
	v_mul_f16_e32 v35, 0x3482, v12
	v_fma_f16 v36, v34, s18, v35
	v_fma_f16 v35, v34, s18, -v35
	s_movk_i32 s17, 0x3b47
	v_add_f16_e32 v21, v35, v21
	v_mul_f16_sdwa v35, v12, s17 dst_sel:DWORD dst_unused:UNUSED_PAD src0_sel:WORD_1 src1_sel:DWORD
	v_add_f16_e32 v19, v36, v19
	v_fma_f16 v36, v30, s5, -v35
	v_add_f16_e32 v22, v36, v22
	v_mul_f16_e32 v36, 0x3b47, v12
	v_fma_f16 v35, v30, s5, v35
	v_add_f16_e32 v25, v35, v25
	v_fma_f16 v35, v34, s5, -v36
	v_add_f16_e32 v23, v35, v23
	v_mul_f16_sdwa v35, v12, s20 dst_sel:DWORD dst_unused:UNUSED_PAD src0_sel:WORD_1 src1_sel:DWORD
	v_fma_f16 v50, v34, s5, v36
	v_fma_f16 v36, v30, s3, -v35
	v_add_f16_e32 v26, v36, v26
	v_mul_f16_e32 v36, 0xb853, v12
	v_add_f16_e32 v24, v50, v24
	v_fma_f16 v50, v34, s3, v36
	v_fma_f16 v34, v34, s3, -v36
	v_add_f16_e32 v27, v34, v27
	v_pk_add_f16 v34, v11, v8
	v_pk_add_f16 v11, v8, v11 neg_lo:[0,1] neg_hi:[0,1]
	v_fma_f16 v35, v30, s3, v35
	v_mul_f16_sdwa v8, v11, s12 dst_sel:DWORD dst_unused:UNUSED_PAD src0_sel:WORD_1 src1_sel:DWORD
	v_add_f16_e32 v29, v35, v29
	v_fma_f16 v35, v34, s16, -v8
	v_fma_f16 v8, v34, s16, v8
	v_add_f16_e32 v6, v8, v6
	v_pk_mul_f16 v8, v34, s21
	s_mov_b32 s21, 0x3bebba0c
	v_add_f16_e32 v13, v35, v13
	v_pk_fma_f16 v35, v11, s21, v8 op_sel:[0,0,1] op_sel_hi:[1,1,0] neg_lo:[1,0,0] neg_hi:[1,0,0]
	v_pk_fma_f16 v36, v11, s21, v8 op_sel:[0,0,1] op_sel_hi:[1,1,0]
	v_bfi_b32 v8, s19, v36, v35
	v_add_f16_e32 v28, v50, v28
	v_pk_add_f16 v18, v8, v18
	v_lshrrev_b32_e32 v8, 16, v34
	v_mul_f16_e32 v50, 0x3beb, v11
	v_fma_f16 v51, v8, s4, v50
	v_fma_f16 v50, v8, s4, -v50
	v_add_f16_e32 v21, v50, v21
	v_mul_f16_sdwa v50, v11, s20 dst_sel:DWORD dst_unused:UNUSED_PAD src0_sel:WORD_1 src1_sel:DWORD
	v_add_f16_e32 v19, v51, v19
	v_fma_f16 v51, v34, s3, -v50
	v_add_f16_e32 v22, v51, v22
	v_mul_f16_e32 v51, 0xb853, v11
	v_fma_f16 v50, v34, s3, v50
	v_add_f16_e32 v25, v50, v25
	v_fma_f16 v50, v8, s3, -v51
	s_mov_b32 s20, 0xb482
	v_add_f16_e32 v23, v50, v23
	v_mul_f16_sdwa v50, v11, s20 dst_sel:DWORD dst_unused:UNUSED_PAD src0_sel:WORD_1 src1_sel:DWORD
	v_fma_f16 v52, v8, s3, v51
	v_fma_f16 v51, v34, s18, -v50
	v_add_f16_e32 v26, v51, v26
	v_mul_f16_e32 v51, 0xb482, v11
	v_fma_f16 v50, v34, s18, v50
	v_add_f16_e32 v24, v52, v24
	v_fma_f16 v52, v8, s18, v51
	v_add_f16_e32 v29, v50, v29
	v_fma_f16 v8, v8, s18, -v51
	v_pk_add_f16 v50, v10, v9
	v_pk_add_f16 v10, v9, v10 neg_lo:[0,1] neg_hi:[0,1]
	v_add_f16_e32 v27, v8, v27
	v_mul_f16_sdwa v8, v10, s20 dst_sel:DWORD dst_unused:UNUSED_PAD src0_sel:WORD_1 src1_sel:DWORD
	v_fma_f16 v9, v50, s18, -v8
	v_fma_f16 v8, v50, s18, v8
	s_mov_b32 s21, 0xbbad3abb
	v_add_f16_e32 v8, v8, v6
	v_pk_mul_f16 v6, v50, s21
	s_mov_b32 s21, 0x3853b482
	v_add_f16_sdwa v17, v0, v17 dst_sel:DWORD dst_unused:UNUSED_PAD src0_sel:DWORD src1_sel:WORD_1
	v_add_f16_e32 v13, v9, v13
	v_pk_fma_f16 v51, v10, s21, v6 op_sel:[0,0,1] op_sel_hi:[1,1,0] neg_lo:[1,0,0] neg_hi:[1,0,0]
	v_add_f16_sdwa v9, v0, v16 dst_sel:DWORD dst_unused:UNUSED_PAD src0_sel:WORD_1 src1_sel:DWORD
	v_pk_fma_f16 v6, v10, s21, v6 op_sel:[0,0,1] op_sel_hi:[1,1,0]
	v_add_f16_sdwa v14, v14, v17 dst_sel:DWORD dst_unused:UNUSED_PAD src0_sel:WORD_1 src1_sel:DWORD
	v_add_f16_e32 v9, v15, v9
	v_bfi_b32 v15, s19, v6, v51
	v_add_f16_sdwa v7, v7, v14 dst_sel:DWORD dst_unused:UNUSED_PAD src0_sel:WORD_1 src1_sel:DWORD
	v_pk_add_f16 v15, v15, v18
	v_lshrrev_b32_e32 v16, 16, v50
	v_mul_f16_e32 v18, 0x3853, v10
	v_add_f16_sdwa v7, v36, v7 dst_sel:DWORD dst_unused:UNUSED_PAD src0_sel:WORD_1 src1_sel:DWORD
	v_add_f16_e32 v9, v33, v9
	v_fma_f16 v33, v16, s3, v18
	v_add_f16_sdwa v6, v6, v7 dst_sel:DWORD dst_unused:UNUSED_PAD src0_sel:WORD_1 src1_sel:DWORD
	v_fma_f16 v7, v16, s3, -v18
	v_mul_f16_sdwa v14, v10, s12 dst_sel:DWORD dst_unused:UNUSED_PAD src0_sel:WORD_1 src1_sel:DWORD
	v_mul_f16_e32 v18, 0xba0c, v10
	v_add_f16_e32 v7, v7, v21
	v_fma_f16 v17, v50, s16, -v14
	v_fma_f16 v21, v16, s16, v18
	v_add_f16_e32 v17, v17, v22
	v_add_f16_e32 v21, v21, v24
	v_fma_f16 v14, v50, s16, v14
	v_fma_f16 v18, v16, s16, -v18
	v_mul_f16_sdwa v22, v10, s17 dst_sel:DWORD dst_unused:UNUSED_PAD src0_sel:WORD_1 src1_sel:DWORD
	v_mul_f16_e32 v24, 0x3b47, v10
	v_add_f16_e32 v28, v52, v28
	v_add_f16_e32 v19, v33, v19
	;; [unrolled: 1-line block ×4, first 2 shown]
	v_fma_f16 v23, v50, s5, -v22
	v_fma_f16 v25, v16, s5, v24
	v_add_f16_e32 v23, v23, v26
	v_add_f16_e32 v25, v25, v28
	v_alignbit_b32 v19, v19, v15, 16
	v_pack_b32_f16 v13, v13, v15
	ds_write2_b32 v32, v13, v19 offset0:1 offset1:2
	v_pack_b32_f16 v13, v23, v25
	v_pack_b32_f16 v15, v17, v21
	v_pk_mul_f16 v3, v3, s18 op_sel_hi:[1,0]
	ds_write2_b32 v32, v15, v13 offset0:3 offset1:4
	v_pk_fma_f16 v13, v2, s20, v3 op_sel:[0,0,1] op_sel_hi:[1,0,0] neg_lo:[1,0,0] neg_hi:[1,0,0]
	v_alignbit_b32 v15, s0, v13, 16
	v_pk_fma_f16 v2, v2, s20, v3 op_sel:[0,0,1] op_sel_hi:[1,0,0]
	v_alignbit_b32 v1, s0, v0, 16
	s_movk_i32 s19, 0x3853
	v_pk_add_f16 v15, v0, v15
	v_pk_add_f16 v0, v0, v2 op_sel:[1,0] op_sel_hi:[0,1]
	v_pk_mul_f16 v2, v5, s3 op_sel_hi:[1,0]
	v_pk_fma_f16 v3, v4, s19, v2 op_sel:[0,0,1] op_sel_hi:[1,0,0] neg_lo:[1,0,0] neg_hi:[1,0,0]
	v_pk_fma_f16 v2, v4, s19, v2 op_sel:[0,0,1] op_sel_hi:[1,0,0]
	v_pk_add_f16 v1, v1, v13
	v_pk_add_f16 v0, v2, v0
	v_pk_mul_f16 v2, v30, s16 op_sel_hi:[1,0]
	v_alignbit_b32 v5, s0, v3, 16
	v_pk_add_f16 v1, v3, v1
	v_pk_fma_f16 v3, v12, s12, v2 op_sel:[0,0,1] op_sel_hi:[1,0,0] neg_lo:[1,0,0] neg_hi:[1,0,0]
	v_pk_fma_f16 v2, v12, s12, v2 op_sel:[0,0,1] op_sel_hi:[1,0,0]
	v_pk_add_f16 v0, v2, v0
	v_pk_mul_f16 v2, v34, s5 op_sel_hi:[1,0]
	v_alignbit_b32 v4, s0, v3, 16
	v_pk_add_f16 v1, v3, v1
	v_pk_fma_f16 v3, v11, s17, v2 op_sel:[0,0,1] op_sel_hi:[1,0,0] neg_lo:[1,0,0] neg_hi:[1,0,0]
	v_pk_fma_f16 v2, v11, s17, v2 op_sel:[0,0,1] op_sel_hi:[1,0,0]
	v_pk_add_f16 v5, v5, v15
	v_pk_add_f16 v0, v2, v0
	v_pk_mul_f16 v2, v50, s4 op_sel_hi:[1,0]
	v_pk_add_f16 v4, v4, v5
	v_alignbit_b32 v5, s0, v3, 16
	v_pk_add_f16 v1, v3, v1
	v_pk_fma_f16 v3, v10, s2, v2 op_sel:[0,0,1] op_sel_hi:[1,0,0] neg_lo:[1,0,0] neg_hi:[1,0,0]
	v_pk_add_f16 v4, v5, v4
	v_alignbit_b32 v5, s0, v3, 16
	v_pk_fma_f16 v2, v10, s2, v2 op_sel:[0,0,1] op_sel_hi:[1,0,0]
	v_fma_f16 v22, v50, s5, v22
	v_fma_f16 v16, v16, s5, -v24
	v_pk_add_f16 v4, v5, v4
	v_pk_add_f16 v0, v2, v0
	;; [unrolled: 1-line block ×3, first 2 shown]
	v_add_f16_e32 v9, v35, v9
	v_add_f16_e32 v22, v22, v29
	;; [unrolled: 1-line block ×3, first 2 shown]
	v_alignbit_b32 v1, v1, v0, 16
	v_pack_b32_f16 v0, v4, v0
	v_add_f16_e32 v9, v51, v9
	ds_write2_b32 v32, v0, v1 offset0:5 offset1:6
	v_pack_b32_f16 v0, v14, v18
	v_pack_b32_f16 v1, v22, v16
	ds_write2_b32 v32, v1, v0 offset0:7 offset1:8
	v_pack_b32_f16 v0, v8, v9
	v_pack_b32_f16 v1, v6, v7
	v_add_u32_e32 v2, 0x900, v37
	v_add_u32_e32 v4, 0x1200, v37
	ds_write2_b32 v32, v1, v0 offset0:9 offset1:10
	s_waitcnt lgkmcnt(0)
	s_barrier
	ds_read2_b32 v[0:1], v37 offset1:165
	ds_read2_b32 v[2:3], v2 offset0:29 offset1:194
	ds_read2_b32 v[4:5], v4 offset0:58 offset1:223
	ds_read_b32 v10, v37 offset:1320
	ds_read_b32 v14, v37 offset:3740
	;; [unrolled: 1-line block ×3, first 2 shown]
	s_movk_i32 s2, 0x6e
	v_cmp_gt_u16_e64 s[2:3], s2, v47
                                        ; implicit-def: $vgpr11
                                        ; implicit-def: $vgpr12
	s_and_saveexec_b64 s[4:5], s[2:3]
	s_cbranch_execz .LBB0_3
; %bb.2:
	ds_read_b32 v6, v37 offset:1980
	ds_read_b32 v8, v37 offset:4400
	ds_read_b32 v11, v37 offset:6820
	s_waitcnt lgkmcnt(2)
	v_lshrrev_b32_e32 v7, 16, v6
	s_waitcnt lgkmcnt(1)
	v_lshrrev_b32_e32 v9, 16, v8
	;; [unrolled: 2-line block ×3, first 2 shown]
.LBB0_3:
	s_or_b64 exec, exec, s[4:5]
	s_movk_i32 s4, 0x75
	v_mul_lo_u16_sdwa v21, v47, s4 dst_sel:DWORD dst_unused:UNUSED_PAD src0_sel:BYTE_0 src1_sel:DWORD
	v_sub_u16_sdwa v22, v47, v21 dst_sel:DWORD dst_unused:UNUSED_PAD src0_sel:DWORD src1_sel:BYTE_1
	v_lshrrev_b16_e32 v22, 1, v22
	v_and_b32_e32 v22, 0x7f, v22
	v_add_u16_sdwa v21, v22, v21 dst_sel:DWORD dst_unused:UNUSED_PAD src0_sel:DWORD src1_sel:BYTE_1
	v_lshrrev_b16_e32 v30, 3, v21
	v_mul_lo_u16_e32 v21, 11, v30
	v_sub_u16_e32 v21, v47, v21
	v_and_b32_e32 v52, 0xff, v21
	v_lshlrev_b32_e32 v21, 3, v52
	global_load_dwordx2 v[21:22], v21, s[14:15]
	s_waitcnt lgkmcnt(4)
	v_lshrrev_b32_e32 v16, 16, v2
	s_waitcnt lgkmcnt(3)
	v_lshrrev_b32_e32 v17, 16, v4
	v_add_co_u32_e32 v35, vcc, 0xa5, v47
	s_mov_b32 s4, 0xba2f
	v_lshrrev_b32_e32 v19, 16, v3
	v_lshrrev_b32_e32 v25, 16, v5
	s_waitcnt lgkmcnt(1)
	v_lshrrev_b32_e32 v27, 16, v14
	s_waitcnt lgkmcnt(0)
	v_lshrrev_b32_e32 v28, 16, v13
	v_lshrrev_b32_e32 v15, 16, v0
	s_mov_b32 s5, 0xbaee
	v_lshrrev_b32_e32 v18, 16, v1
	v_lshrrev_b32_e32 v29, 16, v10
	s_waitcnt vmcnt(0)
	v_mul_f16_sdwa v23, v16, v21 dst_sel:DWORD dst_unused:UNUSED_PAD src0_sel:DWORD src1_sel:WORD_1
	v_fma_f16 v33, v2, v21, -v23
	v_mul_f16_sdwa v2, v2, v21 dst_sel:DWORD dst_unused:UNUSED_PAD src0_sel:DWORD src1_sel:WORD_1
	v_fma_f16 v16, v16, v21, v2
	v_mul_f16_sdwa v2, v17, v22 dst_sel:DWORD dst_unused:UNUSED_PAD src0_sel:DWORD src1_sel:WORD_1
	v_fma_f16 v34, v4, v22, -v2
	v_mul_f16_sdwa v2, v4, v22 dst_sel:DWORD dst_unused:UNUSED_PAD src0_sel:DWORD src1_sel:WORD_1
	v_fma_f16 v17, v17, v22, v2
	v_mul_u32_u24_sdwa v2, v35, s4 dst_sel:DWORD dst_unused:UNUSED_PAD src0_sel:WORD_0 src1_sel:DWORD
	v_lshrrev_b32_e32 v53, 19, v2
	v_mul_lo_u16_e32 v2, 11, v53
	v_sub_u16_e32 v54, v35, v2
	v_lshlrev_b16_e32 v2, 1, v54
	v_lshlrev_b32_e32 v2, 2, v2
	global_load_dwordx2 v[23:24], v2, s[14:15]
	s_movk_i32 s4, 0x3aee
	s_waitcnt vmcnt(0)
	v_mul_f16_sdwa v2, v19, v23 dst_sel:DWORD dst_unused:UNUSED_PAD src0_sel:DWORD src1_sel:WORD_1
	v_fma_f16 v36, v3, v23, -v2
	v_mul_f16_sdwa v2, v3, v23 dst_sel:DWORD dst_unused:UNUSED_PAD src0_sel:DWORD src1_sel:WORD_1
	v_fma_f16 v19, v19, v23, v2
	v_mul_f16_sdwa v2, v25, v24 dst_sel:DWORD dst_unused:UNUSED_PAD src0_sel:DWORD src1_sel:WORD_1
	v_fma_f16 v55, v5, v24, -v2
	v_mul_f16_sdwa v2, v5, v24 dst_sel:DWORD dst_unused:UNUSED_PAD src0_sel:DWORD src1_sel:WORD_1
	v_fma_f16 v56, v25, v24, v2
	v_add_u16_e32 v2, 0x14a, v47
	v_mul_u32_u24_e32 v3, 0xba2f, v2
	v_lshrrev_b32_e32 v57, 19, v3
	v_mul_lo_u16_e32 v3, 11, v57
	v_sub_u16_e32 v58, v2, v3
	v_lshlrev_b16_e32 v3, 1, v58
	v_lshlrev_b32_e32 v3, 2, v3
	global_load_dwordx2 v[25:26], v3, s[14:15]
	s_waitcnt vmcnt(0)
	v_mul_f16_sdwa v3, v27, v25 dst_sel:DWORD dst_unused:UNUSED_PAD src0_sel:DWORD src1_sel:WORD_1
	v_fma_f16 v59, v14, v25, -v3
	v_mul_f16_sdwa v3, v14, v25 dst_sel:DWORD dst_unused:UNUSED_PAD src0_sel:DWORD src1_sel:WORD_1
	v_fma_f16 v14, v27, v25, v3
	v_mul_f16_sdwa v3, v28, v26 dst_sel:DWORD dst_unused:UNUSED_PAD src0_sel:DWORD src1_sel:WORD_1
	v_fma_f16 v60, v13, v26, -v3
	v_mul_f16_sdwa v3, v13, v26 dst_sel:DWORD dst_unused:UNUSED_PAD src0_sel:DWORD src1_sel:WORD_1
	v_fma_f16 v13, v28, v26, v3
	v_add_u16_e32 v3, 0x1ef, v47
	v_mul_u32_u24_e32 v4, 0xba2f, v3
	v_lshrrev_b32_e32 v50, 19, v4
	v_mul_lo_u16_e32 v4, 11, v50
	v_sub_u16_e32 v51, v3, v4
	v_lshlrev_b16_e32 v3, 1, v51
	v_lshlrev_b32_e32 v3, 2, v3
	global_load_dwordx2 v[27:28], v3, s[14:15]
	s_waitcnt vmcnt(0)
	s_barrier
	v_mul_f16_sdwa v4, v8, v27 dst_sel:DWORD dst_unused:UNUSED_PAD src0_sel:DWORD src1_sel:WORD_1
	v_mul_f16_sdwa v3, v9, v27 dst_sel:DWORD dst_unused:UNUSED_PAD src0_sel:DWORD src1_sel:WORD_1
	v_fma_f16 v5, v9, v27, v4
	v_mul_f16_sdwa v4, v12, v28 dst_sel:DWORD dst_unused:UNUSED_PAD src0_sel:DWORD src1_sel:WORD_1
	v_fma_f16 v3, v8, v27, -v3
	v_fma_f16 v4, v11, v28, -v4
	v_mul_f16_sdwa v8, v11, v28 dst_sel:DWORD dst_unused:UNUSED_PAD src0_sel:DWORD src1_sel:WORD_1
	v_add_f16_e32 v11, v33, v34
	v_add_f16_e32 v9, v0, v33
	v_fma_f16 v0, v11, -0.5, v0
	v_sub_f16_e32 v11, v16, v17
	v_fma_f16 v8, v12, v28, v8
	v_fma_f16 v12, v11, s4, v0
	v_fma_f16 v0, v11, s5, v0
	v_add_f16_e32 v11, v15, v16
	v_add_f16_e32 v16, v16, v17
	v_fma_f16 v15, v16, -0.5, v15
	v_sub_f16_e32 v16, v33, v34
	v_add_f16_e32 v33, v36, v55
	v_add_f16_e32 v11, v11, v17
	v_fma_f16 v17, v16, s5, v15
	v_fma_f16 v15, v16, s4, v15
	v_add_f16_e32 v16, v1, v36
	v_fma_f16 v1, v33, -0.5, v1
	v_sub_f16_e32 v33, v19, v56
	v_fma_f16 v61, v33, s4, v1
	v_fma_f16 v1, v33, s5, v1
	v_add_f16_e32 v33, v18, v19
	v_add_f16_e32 v19, v19, v56
	;; [unrolled: 1-line block ×3, first 2 shown]
	v_fma_f16 v18, v19, -0.5, v18
	v_sub_f16_e32 v19, v36, v55
	v_add_f16_e32 v33, v59, v60
	v_fma_f16 v56, v19, s5, v18
	v_fma_f16 v18, v19, s4, v18
	v_add_f16_e32 v19, v10, v59
	v_fma_f16 v10, v33, -0.5, v10
	v_sub_f16_e32 v33, v14, v13
	v_fma_f16 v63, v33, s4, v10
	v_fma_f16 v10, v33, s5, v10
	v_add_f16_e32 v33, v29, v14
	v_add_f16_e32 v64, v33, v13
	;; [unrolled: 1-line block ×3, first 2 shown]
	v_fma_f16 v13, v13, -0.5, v29
	v_sub_f16_e32 v14, v59, v60
	v_fma_f16 v29, v14, s5, v13
	v_fma_f16 v13, v14, s4, v13
	v_add_f16_e32 v14, v3, v4
	v_add_f16_e32 v9, v9, v34
	v_fma_f16 v14, v14, -0.5, v6
	v_sub_f16_e32 v34, v5, v8
	v_fma_f16 v33, v34, s4, v14
	v_fma_f16 v36, v34, s5, v14
	v_add_f16_e32 v14, v5, v8
	v_add_f16_e32 v16, v16, v55
	v_fma_f16 v14, v14, -0.5, v7
	v_sub_f16_e32 v55, v3, v4
	v_fma_f16 v34, v55, s5, v14
	v_fma_f16 v55, v55, s4, v14
	v_mul_u32_u24_e32 v14, 33, v30
	v_add_lshl_u32 v52, v14, v52, 2
	v_pack_b32_f16 v0, v0, v15
	v_pack_b32_f16 v9, v9, v11
	;; [unrolled: 1-line block ×3, first 2 shown]
	ds_write_b32 v52, v0 offset:88
	v_mad_legacy_u16 v0, v53, 33, v54
	ds_write2_b32 v52, v9, v11 offset1:11
	v_lshlrev_b32_e32 v53, 2, v0
	v_pack_b32_f16 v0, v16, v62
	v_pack_b32_f16 v9, v61, v56
	ds_write2_b32 v53, v0, v9 offset1:11
	v_pack_b32_f16 v0, v1, v18
	v_add_f16_e32 v19, v19, v60
	ds_write_b32 v53, v0 offset:88
	v_mad_legacy_u16 v0, v57, 33, v58
	v_lshlrev_b32_e32 v54, 2, v0
	v_pack_b32_f16 v0, v19, v64
	v_pack_b32_f16 v1, v63, v29
	ds_write2_b32 v54, v0, v1 offset1:11
	v_pack_b32_f16 v0, v10, v13
	ds_write_b32 v54, v0 offset:88
	s_and_saveexec_b64 s[4:5], s[2:3]
	s_cbranch_execz .LBB0_5
; %bb.4:
	v_add_f16_e32 v0, v7, v5
	v_add_f16_e32 v1, v6, v3
	;; [unrolled: 1-line block ×4, first 2 shown]
	v_mad_legacy_u16 v3, v50, 33, v51
	s_mov_b32 s12, 0x5040100
	v_lshlrev_b32_e32 v3, 2, v3
	v_pack_b32_f16 v0, v1, v0
	v_perm_b32 v1, v34, v33, s12
	ds_write2_b32 v3, v0, v1 offset1:11
	v_perm_b32 v0, v55, v36, s12
	ds_write_b32 v3, v0 offset:88
.LBB0_5:
	s_or_b64 exec, exec, s[4:5]
	v_add_u32_e32 v0, 0x500, v37
	s_waitcnt lgkmcnt(0)
	s_barrier
	ds_read2_b32 v[14:15], v0 offset0:43 offset1:208
	v_add_u32_e32 v0, 0xa00, v37
	ds_read2_b32 v[16:17], v0 offset0:86 offset1:251
	v_add_u32_e32 v0, 0x1000, v37
	;; [unrolled: 2-line block ×3, first 2 shown]
	ds_read2_b32 v[12:13], v37 offset1:165
	ds_read2_b32 v[29:30], v0 offset0:44 offset1:209
	v_cmp_gt_u16_e32 vcc, 33, v47
                                        ; implicit-def: $vgpr56
                                        ; implicit-def: $vgpr59
                                        ; implicit-def: $vgpr57
                                        ; implicit-def: $vgpr60
                                        ; implicit-def: $vgpr58
                                        ; implicit-def: $vgpr61
	s_and_saveexec_b64 s[4:5], vcc
	s_cbranch_execz .LBB0_7
; %bb.6:
	ds_read_b32 v33, v37 offset:1320
	ds_read_b32 v36, v37 offset:2772
	;; [unrolled: 1-line block ×5, first 2 shown]
	s_waitcnt lgkmcnt(4)
	v_lshrrev_b32_e32 v34, 16, v33
	s_waitcnt lgkmcnt(3)
	v_lshrrev_b32_e32 v55, 16, v36
	;; [unrolled: 2-line block ×5, first 2 shown]
.LBB0_7:
	s_or_b64 exec, exec, s[4:5]
	v_mul_u32_u24_e32 v0, 0xf83f, v2
	v_lshrrev_b32_e32 v0, 21, v0
	v_mul_lo_u16_e32 v0, 33, v0
	v_sub_u16_e32 v72, v2, v0
	v_lshlrev_b16_e32 v0, 4, v72
	v_mov_b32_e32 v5, s15
	v_add_co_u32_e64 v0, s[4:5], s14, v0
	v_addc_co_u32_e64 v1, s[4:5], 0, v5, s[4:5]
	s_movk_i32 s4, 0xf9
	v_mul_lo_u16_sdwa v4, v47, s4 dst_sel:DWORD dst_unused:UNUSED_PAD src0_sel:BYTE_0 src1_sel:DWORD
	v_lshrrev_b16_e32 v62, 13, v4
	v_mul_lo_u16_e32 v4, 33, v62
	v_sub_u16_e32 v4, v47, v4
	v_and_b32_e32 v63, 0xff, v4
	v_lshlrev_b32_e32 v4, 4, v63
	s_mov_b32 s4, 0xf83f
	global_load_dwordx4 v[0:3], v[0:1], off offset:88
	s_waitcnt lgkmcnt(4)
	v_lshrrev_b32_e32 v65, 16, v14
	global_load_dwordx4 v[8:11], v4, s[14:15] offset:88
	v_mul_u32_u24_sdwa v4, v35, s4 dst_sel:DWORD dst_unused:UNUSED_PAD src0_sel:WORD_0 src1_sel:DWORD
	v_lshrrev_b32_e32 v73, 21, v4
	v_mul_lo_u16_e32 v4, 33, v73
	v_sub_u16_e32 v74, v35, v4
	v_lshlrev_b16_e32 v4, 4, v74
	v_add_co_u32_e64 v4, s[4:5], s14, v4
	v_addc_co_u32_e64 v5, s[4:5], 0, v5, s[4:5]
	global_load_dwordx4 v[4:7], v[4:5], off offset:88
	s_waitcnt lgkmcnt(3)
	v_lshrrev_b32_e32 v75, 16, v16
	s_waitcnt lgkmcnt(2)
	v_lshrrev_b32_e32 v81, 16, v19
	v_lshrrev_b32_e32 v76, 16, v18
	s_waitcnt lgkmcnt(0)
	v_lshrrev_b32_e32 v77, 16, v29
	v_lshrrev_b32_e32 v79, 16, v15
	;; [unrolled: 1-line block ×4, first 2 shown]
	s_movk_i32 s4, 0x3b9c
	s_mov_b32 s17, 0xbb9c
	s_movk_i32 s5, 0x38b4
	s_mov_b32 s18, 0xb8b4
	s_movk_i32 s16, 0x34f2
	v_lshrrev_b32_e32 v64, 16, v12
	v_lshrrev_b32_e32 v78, 16, v13
	s_waitcnt vmcnt(0)
	s_barrier
	s_mov_b32 s12, 0xffff
	v_mul_f16_sdwa v69, v56, v1 dst_sel:DWORD dst_unused:UNUSED_PAD src0_sel:DWORD src1_sel:WORD_1
	v_mul_f16_sdwa v66, v36, v0 dst_sel:DWORD dst_unused:UNUSED_PAD src0_sel:DWORD src1_sel:WORD_1
	;; [unrolled: 1-line block ×8, first 2 shown]
	v_fma_f16 v69, v59, v1, v69
	v_fma_f16 v14, v14, v8, -v85
	v_mul_f16_sdwa v88, v16, v9 dst_sel:DWORD dst_unused:UNUSED_PAD src0_sel:DWORD src1_sel:WORD_1
	v_mul_f16_sdwa v89, v76, v10 dst_sel:DWORD dst_unused:UNUSED_PAD src0_sel:DWORD src1_sel:WORD_1
	;; [unrolled: 1-line block ×3, first 2 shown]
	v_fma_f16 v67, v55, v0, v66
	v_fma_f16 v66, v57, v2, -v70
	v_fma_f16 v70, v60, v2, v71
	v_mul_f16_sdwa v60, v19, v6 dst_sel:DWORD dst_unused:UNUSED_PAD src0_sel:DWORD src1_sel:WORD_1
	v_fma_f16 v16, v16, v9, -v87
	v_fma_f16 v19, v19, v6, -v59
	v_add_f16_e32 v59, v12, v14
	v_mul_f16_sdwa v35, v55, v0 dst_sel:DWORD dst_unused:UNUSED_PAD src0_sel:DWORD src1_sel:WORD_1
	v_mul_f16_sdwa v90, v18, v10 dst_sel:DWORD dst_unused:UNUSED_PAD src0_sel:DWORD src1_sel:WORD_1
	;; [unrolled: 1-line block ×3, first 2 shown]
	v_fma_f16 v18, v18, v10, -v89
	v_add_f16_e32 v59, v59, v16
	v_mul_f16_sdwa v92, v29, v11 dst_sel:DWORD dst_unused:UNUSED_PAD src0_sel:DWORD src1_sel:WORD_1
	v_fma_f16 v35, v36, v0, -v35
	v_fma_f16 v36, v56, v1, -v68
	v_mul_f16_sdwa v55, v79, v4 dst_sel:DWORD dst_unused:UNUSED_PAD src0_sel:DWORD src1_sel:WORD_1
	v_mul_f16_sdwa v56, v15, v4 dst_sel:DWORD dst_unused:UNUSED_PAD src0_sel:DWORD src1_sel:WORD_1
	v_fma_f16 v29, v29, v11, -v91
	v_add_f16_e32 v59, v59, v18
	v_mul_f16_sdwa v83, v61, v3 dst_sel:DWORD dst_unused:UNUSED_PAD src0_sel:DWORD src1_sel:WORD_1
	v_mul_f16_sdwa v84, v58, v3 dst_sel:DWORD dst_unused:UNUSED_PAD src0_sel:DWORD src1_sel:WORD_1
	;; [unrolled: 1-line block ×3, first 2 shown]
	v_fma_f16 v65, v65, v8, v86
	v_fma_f16 v77, v77, v11, v92
	v_fma_f16 v15, v15, v4, -v55
	v_fma_f16 v55, v79, v4, v56
	v_add_f16_e32 v79, v59, v29
	v_add_f16_e32 v59, v16, v18
	v_fma_f16 v68, v58, v3, -v83
	v_fma_f16 v71, v61, v3, v84
	v_mul_f16_sdwa v58, v17, v5 dst_sel:DWORD dst_unused:UNUSED_PAD src0_sel:DWORD src1_sel:WORD_1
	v_mul_f16_sdwa v61, v82, v7 dst_sel:DWORD dst_unused:UNUSED_PAD src0_sel:DWORD src1_sel:WORD_1
	;; [unrolled: 1-line block ×3, first 2 shown]
	v_fma_f16 v75, v75, v9, v88
	v_fma_f16 v76, v76, v10, v90
	v_fma_f16 v17, v17, v5, -v57
	v_fma_f16 v57, v81, v6, v60
	v_fma_f16 v59, v59, -0.5, v12
	v_sub_f16_e32 v60, v65, v77
	v_fma_f16 v56, v80, v5, v58
	v_fma_f16 v30, v30, v7, -v61
	v_fma_f16 v58, v82, v7, v83
	v_fma_f16 v61, v60, s4, v59
	v_sub_f16_e32 v80, v75, v76
	v_sub_f16_e32 v81, v14, v16
	;; [unrolled: 1-line block ×3, first 2 shown]
	v_fma_f16 v59, v60, s17, v59
	v_fma_f16 v61, v80, s5, v61
	v_add_f16_e32 v81, v81, v82
	v_fma_f16 v59, v80, s18, v59
	v_fma_f16 v82, v81, s16, v61
	;; [unrolled: 1-line block ×3, first 2 shown]
	v_add_f16_e32 v59, v14, v29
	v_fma_f16 v12, v59, -0.5, v12
	v_fma_f16 v59, v80, s17, v12
	v_sub_f16_e32 v61, v16, v14
	v_sub_f16_e32 v83, v18, v29
	v_fma_f16 v59, v60, s5, v59
	v_add_f16_e32 v61, v61, v83
	v_fma_f16 v83, v61, s16, v59
	v_add_f16_e32 v59, v64, v65
	v_add_f16_e32 v59, v59, v75
	;; [unrolled: 1-line block ×3, first 2 shown]
	v_fma_f16 v12, v80, s4, v12
	v_add_f16_e32 v80, v59, v77
	v_add_f16_e32 v59, v75, v76
	v_fma_f16 v59, v59, -0.5, v64
	v_sub_f16_e32 v14, v14, v29
	v_fma_f16 v29, v14, s17, v59
	v_sub_f16_e32 v16, v16, v18
	v_fma_f16 v12, v60, s18, v12
	v_fma_f16 v18, v16, s18, v29
	v_sub_f16_e32 v29, v65, v75
	v_sub_f16_e32 v60, v77, v76
	v_fma_f16 v59, v14, s4, v59
	v_add_f16_e32 v29, v29, v60
	v_fma_f16 v59, v16, s5, v59
	v_fma_f16 v18, v29, s16, v18
	;; [unrolled: 1-line block ×3, first 2 shown]
	v_add_f16_e32 v59, v65, v77
	v_fma_f16 v59, v59, -0.5, v64
	v_fma_f16 v12, v61, s16, v12
	v_fma_f16 v60, v16, s4, v59
	v_sub_f16_e32 v61, v75, v65
	v_sub_f16_e32 v64, v76, v77
	v_fma_f16 v60, v14, s18, v60
	v_add_f16_e32 v61, v61, v64
	v_fma_f16 v16, v16, s17, v59
	v_add_f16_e32 v59, v17, v19
	v_fma_f16 v75, v61, s16, v60
	v_fma_f16 v14, v14, s5, v16
	v_fma_f16 v59, v59, -0.5, v13
	v_sub_f16_e32 v60, v55, v58
	v_fma_f16 v14, v61, s16, v14
	v_fma_f16 v61, v60, s4, v59
	v_sub_f16_e32 v64, v56, v57
	v_sub_f16_e32 v65, v15, v17
	;; [unrolled: 1-line block ×3, first 2 shown]
	v_fma_f16 v59, v60, s17, v59
	v_add_f16_e32 v65, v65, v76
	v_fma_f16 v59, v64, s18, v59
	v_fma_f16 v77, v65, s16, v59
	v_add_f16_e32 v59, v15, v30
	v_add_f16_e32 v16, v13, v15
	v_fma_f16 v61, v64, s5, v61
	v_fma_f16 v13, v59, -0.5, v13
	v_fma_f16 v76, v65, s16, v61
	v_fma_f16 v59, v64, s17, v13
	v_sub_f16_e32 v61, v17, v15
	v_sub_f16_e32 v65, v19, v30
	v_fma_f16 v59, v60, s5, v59
	v_add_f16_e32 v61, v61, v65
	v_fma_f16 v84, v61, s16, v59
	v_add_f16_e32 v59, v78, v55
	v_add_f16_e32 v59, v59, v56
	;; [unrolled: 1-line block ×7, first 2 shown]
	v_fma_f16 v59, v59, -0.5, v78
	v_sub_f16_e32 v15, v15, v30
	v_add_f16_e32 v16, v16, v30
	v_fma_f16 v13, v64, s4, v13
	v_fma_f16 v30, v15, s17, v59
	v_sub_f16_e32 v17, v17, v19
	v_fma_f16 v13, v60, s18, v13
	v_fma_f16 v19, v17, s18, v30
	v_sub_f16_e32 v30, v55, v56
	v_sub_f16_e32 v60, v58, v57
	v_fma_f16 v59, v15, s4, v59
	v_add_f16_e32 v30, v30, v60
	v_fma_f16 v59, v17, s5, v59
	v_fma_f16 v19, v30, s16, v19
	;; [unrolled: 1-line block ×3, first 2 shown]
	v_add_f16_e32 v59, v55, v58
	v_fma_f16 v59, v59, -0.5, v78
	v_fma_f16 v60, v17, s4, v59
	v_sub_f16_e32 v55, v56, v55
	v_sub_f16_e32 v56, v57, v58
	v_fma_f16 v17, v17, s17, v59
	v_fma_f16 v60, v15, s18, v60
	v_add_f16_e32 v55, v55, v56
	v_fma_f16 v15, v15, s5, v17
	v_add_f16_e32 v17, v36, v66
	v_fma_f16 v78, v55, s16, v60
	v_fma_f16 v15, v55, s16, v15
	v_fma_f16 v17, v17, -0.5, v33
	v_sub_f16_e32 v55, v67, v71
	v_fma_f16 v56, v55, s4, v17
	v_sub_f16_e32 v58, v69, v70
	v_sub_f16_e32 v57, v35, v36
	;; [unrolled: 1-line block ×3, first 2 shown]
	v_fma_f16 v17, v55, s17, v17
	v_fma_f16 v56, v58, s5, v56
	v_add_f16_e32 v57, v57, v59
	v_fma_f16 v17, v58, s18, v17
	v_fma_f16 v64, v57, s16, v56
	;; [unrolled: 1-line block ×3, first 2 shown]
	v_add_f16_e32 v17, v35, v68
	v_fma_f16 v17, v17, -0.5, v33
	v_fma_f16 v57, v58, s17, v17
	v_sub_f16_e32 v59, v36, v35
	v_sub_f16_e32 v60, v66, v68
	v_fma_f16 v17, v58, s4, v17
	v_add_f16_e32 v59, v59, v60
	v_fma_f16 v17, v55, s18, v17
	v_fma_f16 v58, v59, s16, v17
	v_add_f16_e32 v17, v69, v70
	v_fma_f16 v57, v55, s5, v57
	v_fma_f16 v17, v17, -0.5, v34
	v_sub_f16_e32 v55, v35, v68
	v_fma_f16 v13, v61, s16, v13
	v_fma_f16 v57, v59, s16, v57
	;; [unrolled: 1-line block ×3, first 2 shown]
	v_sub_f16_e32 v61, v36, v66
	v_sub_f16_e32 v60, v67, v69
	;; [unrolled: 1-line block ×3, first 2 shown]
	v_fma_f16 v17, v55, s4, v17
	v_fma_f16 v59, v61, s18, v59
	v_add_f16_e32 v60, v60, v65
	v_fma_f16 v17, v61, s5, v17
	v_fma_f16 v65, v60, s16, v59
	v_fma_f16 v59, v60, s16, v17
	v_add_f16_e32 v17, v67, v71
	v_fma_f16 v17, v17, -0.5, v34
	v_fma_f16 v60, v61, s4, v17
	v_sub_f16_e32 v86, v69, v67
	v_sub_f16_e32 v87, v70, v71
	v_fma_f16 v17, v61, s17, v17
	v_add_f16_e32 v86, v86, v87
	v_fma_f16 v17, v55, s5, v17
	v_fma_f16 v61, v86, s16, v17
	v_mul_u32_u24_e32 v17, 0xa5, v62
	v_add_lshl_u32 v62, v17, v63, 2
	v_pack_b32_f16 v17, v79, v80
	v_pack_b32_f16 v18, v82, v18
	ds_write2_b32 v62, v17, v18 offset1:33
	v_pack_b32_f16 v17, v83, v75
	v_pack_b32_f16 v12, v12, v14
	s_movk_i32 s4, 0xa5
	ds_write2_b32 v62, v17, v12 offset0:66 offset1:99
	v_pack_b32_f16 v12, v81, v29
	ds_write_b32 v62, v12 offset:528
	v_mad_legacy_u16 v12, v73, s4, v74
	v_lshlrev_b32_e32 v63, 2, v12
	v_pack_b32_f16 v12, v16, v85
	v_pack_b32_f16 v14, v76, v19
	v_fma_f16 v60, v55, s18, v60
	ds_write2_b32 v63, v12, v14 offset1:33
	v_pack_b32_f16 v12, v84, v78
	v_pack_b32_f16 v13, v13, v15
	v_fma_f16 v60, v86, s16, v60
	ds_write2_b32 v63, v12, v13 offset0:66 offset1:99
	v_pack_b32_f16 v12, v77, v30
	v_lshlrev_b32_e32 v55, 2, v72
	ds_write_b32 v63, v12 offset:528
	s_and_saveexec_b64 s[4:5], vcc
	s_cbranch_execz .LBB0_9
; %bb.8:
	v_add_f16_e32 v12, v34, v67
	v_add_f16_e32 v13, v33, v35
	;; [unrolled: 1-line block ×8, first 2 shown]
	s_mov_b32 s16, 0x5040100
	v_pack_b32_f16 v12, v13, v12
	v_perm_b32 v13, v65, v64, s16
	v_add_u32_e32 v14, 0x1800, v55
	ds_write2_b32 v14, v12, v13 offset0:114 offset1:147
	v_perm_b32 v12, v60, v57, s16
	v_perm_b32 v13, v61, v58, s16
	ds_write2_b32 v14, v12, v13 offset0:180 offset1:213
	v_perm_b32 v12, v59, v56, s16
	ds_write_b32 v55, v12 offset:7128
.LBB0_9:
	s_or_b64 exec, exec, s[4:5]
	v_mad_u64_u32 v[33:34], s[4:5], v47, 40, s[14:15]
	s_waitcnt lgkmcnt(0)
	s_barrier
	global_load_dwordx4 v[12:15], v[33:34], off offset:616
	global_load_dwordx4 v[16:19], v[33:34], off offset:632
	global_load_dwordx2 v[29:30], v[33:34], off offset:648
	ds_read2_b32 v[66:67], v37 offset1:165
	v_mov_b32_e32 v68, s13
	v_add_u32_e32 v33, 0x400, v37
	v_add_u32_e32 v34, 0xa00, v37
	;; [unrolled: 1-line block ×4, first 2 shown]
	ds_read_b32 v76, v37 offset:6600
	v_addc_co_u32_e64 v77, s[0:1], 0, v68, s[0:1]
	ds_read2_b32 v[68:69], v33 offset0:74 offset1:239
	ds_read2_b32 v[70:71], v34 offset0:20 offset1:185
	;; [unrolled: 1-line block ×4, first 2 shown]
	s_waitcnt lgkmcnt(5)
	v_lshrrev_b32_e32 v78, 16, v67
	s_waitcnt lgkmcnt(3)
	v_lshrrev_b32_e32 v80, 16, v68
	v_lshrrev_b32_e32 v81, 16, v69
	s_waitcnt lgkmcnt(2)
	v_lshrrev_b32_e32 v82, 16, v70
	;; [unrolled: 3-line block ×3, first 2 shown]
	v_lshrrev_b32_e32 v85, 16, v73
	v_lshrrev_b32_e32 v79, 16, v76
	s_waitcnt lgkmcnt(0)
	v_lshrrev_b32_e32 v86, 16, v74
	v_lshrrev_b32_e32 v87, 16, v75
	s_movk_i32 s5, 0x3abb
	s_movk_i32 s4, 0x36a6
	s_mov_b32 s13, 0xb08e
	s_mov_b32 s14, 0xb93d
	s_mov_b32 s15, 0xbbad
	s_movk_i32 s0, 0x1000
	s_mov_b32 s20, 0xb853
	s_mov_b32 s19, 0xbb47
	s_movk_i32 s16, 0x3b47
	s_movk_i32 s21, 0x3482
	;; [unrolled: 1-line block ×4, first 2 shown]
	s_mov_b32 s17, 0xb482
	s_movk_i32 s18, 0x3853
	s_waitcnt vmcnt(2)
	v_mul_f16_sdwa v89, v67, v12 dst_sel:DWORD dst_unused:UNUSED_PAD src0_sel:DWORD src1_sel:WORD_1
	v_mul_f16_sdwa v88, v78, v12 dst_sel:DWORD dst_unused:UNUSED_PAD src0_sel:DWORD src1_sel:WORD_1
	;; [unrolled: 1-line block ×3, first 2 shown]
	v_fma_f16 v78, v78, v12, v89
	v_mul_f16_sdwa v90, v80, v13 dst_sel:DWORD dst_unused:UNUSED_PAD src0_sel:DWORD src1_sel:WORD_1
	v_mul_f16_sdwa v93, v69, v14 dst_sel:DWORD dst_unused:UNUSED_PAD src0_sel:DWORD src1_sel:WORD_1
	v_fma_f16 v67, v67, v12, -v88
	v_fma_f16 v80, v80, v13, v91
	v_add_f16_sdwa v89, v66, v78 dst_sel:DWORD dst_unused:UNUSED_PAD src0_sel:WORD_1 src1_sel:DWORD
	v_mul_f16_sdwa v92, v81, v14 dst_sel:DWORD dst_unused:UNUSED_PAD src0_sel:DWORD src1_sel:WORD_1
	v_mul_f16_sdwa v95, v70, v15 dst_sel:DWORD dst_unused:UNUSED_PAD src0_sel:DWORD src1_sel:WORD_1
	v_fma_f16 v68, v68, v13, -v90
	v_fma_f16 v81, v81, v14, v93
	v_add_f16_e32 v88, v66, v67
	v_add_f16_e32 v89, v89, v80
	v_mul_f16_sdwa v94, v82, v15 dst_sel:DWORD dst_unused:UNUSED_PAD src0_sel:DWORD src1_sel:WORD_1
	s_waitcnt vmcnt(1)
	v_mul_f16_sdwa v97, v71, v16 dst_sel:DWORD dst_unused:UNUSED_PAD src0_sel:DWORD src1_sel:WORD_1
	v_fma_f16 v69, v69, v14, -v92
	v_fma_f16 v82, v82, v15, v95
	v_add_f16_e32 v88, v88, v68
	v_add_f16_e32 v89, v89, v81
	v_mul_f16_sdwa v96, v83, v16 dst_sel:DWORD dst_unused:UNUSED_PAD src0_sel:DWORD src1_sel:WORD_1
	v_mul_f16_sdwa v99, v72, v17 dst_sel:DWORD dst_unused:UNUSED_PAD src0_sel:DWORD src1_sel:WORD_1
	v_fma_f16 v70, v70, v15, -v94
	v_fma_f16 v83, v83, v16, v97
	v_add_f16_e32 v88, v88, v69
	v_add_f16_e32 v89, v89, v82
	v_mul_f16_sdwa v98, v84, v17 dst_sel:DWORD dst_unused:UNUSED_PAD src0_sel:DWORD src1_sel:WORD_1
	v_mul_f16_sdwa v101, v73, v18 dst_sel:DWORD dst_unused:UNUSED_PAD src0_sel:DWORD src1_sel:WORD_1
	v_fma_f16 v71, v71, v16, -v96
	v_fma_f16 v84, v84, v17, v99
	v_add_f16_e32 v88, v88, v70
	v_add_f16_e32 v89, v89, v83
	v_mul_f16_sdwa v100, v85, v18 dst_sel:DWORD dst_unused:UNUSED_PAD src0_sel:DWORD src1_sel:WORD_1
	v_mul_f16_sdwa v103, v74, v19 dst_sel:DWORD dst_unused:UNUSED_PAD src0_sel:DWORD src1_sel:WORD_1
	v_fma_f16 v72, v72, v17, -v98
	v_fma_f16 v85, v85, v18, v101
	v_add_f16_e32 v88, v88, v71
	v_add_f16_e32 v89, v89, v84
	v_mul_f16_sdwa v102, v86, v19 dst_sel:DWORD dst_unused:UNUSED_PAD src0_sel:DWORD src1_sel:WORD_1
	s_waitcnt vmcnt(0)
	v_mul_f16_sdwa v105, v75, v29 dst_sel:DWORD dst_unused:UNUSED_PAD src0_sel:DWORD src1_sel:WORD_1
	v_mul_f16_sdwa v106, v79, v30 dst_sel:DWORD dst_unused:UNUSED_PAD src0_sel:DWORD src1_sel:WORD_1
	;; [unrolled: 1-line block ×3, first 2 shown]
	v_fma_f16 v73, v73, v18, -v100
	v_fma_f16 v86, v86, v19, v103
	v_add_f16_e32 v88, v88, v72
	v_add_f16_e32 v89, v89, v85
	v_mul_f16_sdwa v104, v87, v29 dst_sel:DWORD dst_unused:UNUSED_PAD src0_sel:DWORD src1_sel:WORD_1
	v_fma_f16 v74, v74, v19, -v102
	v_fma_f16 v87, v87, v29, v105
	v_fma_f16 v76, v76, v30, -v106
	v_fma_f16 v79, v79, v30, v107
	v_add_f16_e32 v88, v88, v73
	v_add_f16_e32 v89, v89, v86
	v_fma_f16 v75, v75, v29, -v104
	v_add_f16_e32 v90, v67, v76
	v_add_f16_e32 v91, v78, v79
	v_sub_f16_e32 v67, v67, v76
	v_sub_f16_e32 v78, v78, v79
	v_add_f16_e32 v88, v88, v74
	v_add_f16_e32 v89, v89, v87
	v_mul_f16_e32 v92, 0xb853, v78
	v_add_f16_e32 v88, v88, v75
	v_add_f16_e32 v79, v89, v79
	v_mul_f16_e32 v89, 0xb853, v67
	v_mul_f16_e32 v94, 0xbb47, v78
	;; [unrolled: 1-line block ×9, first 2 shown]
	v_add_f16_e32 v76, v88, v76
	v_fma_f16 v88, v90, s5, -v92
	v_fma_f16 v93, v91, s5, v89
	v_fma_f16 v92, v90, s5, v92
	v_fma_f16 v89, v91, s5, -v89
	v_fma_f16 v95, v90, s4, -v94
	v_fma_f16 v97, v91, s4, v96
	v_fma_f16 v94, v90, s4, v94
	v_fma_f16 v96, v91, s4, -v96
	v_fma_f16 v99, v90, s13, -v98
	v_fma_f16 v101, v91, s13, v100
	v_fma_f16 v98, v90, s13, v98
	v_fma_f16 v100, v91, s13, -v100
	v_fma_f16 v103, v90, s14, -v102
	v_fma_f16 v105, v91, s14, v104
	v_fma_f16 v102, v90, s14, v102
	v_fma_f16 v104, v91, s14, -v104
	v_fma_f16 v106, v90, s15, -v78
	v_fma_f16 v107, v91, s15, v67
	v_fma_f16 v78, v90, s15, v78
	v_fma_f16 v67, v91, s15, -v67
	v_add_f16_e32 v88, v66, v88
	v_add_f16_sdwa v93, v66, v93 dst_sel:DWORD dst_unused:UNUSED_PAD src0_sel:WORD_1 src1_sel:DWORD
	v_add_f16_e32 v92, v66, v92
	v_add_f16_sdwa v89, v66, v89 dst_sel:DWORD dst_unused:UNUSED_PAD src0_sel:WORD_1 src1_sel:DWORD
	;; [unrolled: 2-line block ×10, first 2 shown]
	v_add_f16_e32 v67, v68, v75
	v_sub_f16_e32 v68, v68, v75
	v_sub_f16_e32 v75, v80, v87
	v_add_f16_e32 v90, v80, v87
	v_mul_f16_e32 v80, 0xbb47, v75
	v_fma_f16 v87, v67, s4, -v80
	v_add_f16_e32 v87, v87, v88
	v_mul_f16_e32 v88, 0xbb47, v68
	v_fma_f16 v91, v90, s4, v88
	v_fma_f16 v88, v90, s4, -v88
	v_fma_f16 v80, v67, s4, v80
	v_add_f16_e32 v88, v88, v89
	v_mul_f16_e32 v89, 0xba0c, v75
	v_add_f16_e32 v91, v91, v93
	v_add_f16_e32 v80, v80, v92
	v_fma_f16 v92, v67, s14, -v89
	v_mul_f16_e32 v93, 0xba0c, v68
	v_fma_f16 v89, v67, s14, v89
	v_add_f16_e32 v92, v92, v95
	v_fma_f16 v95, v90, s14, v93
	v_add_f16_e32 v89, v89, v94
	v_fma_f16 v93, v90, s14, -v93
	v_mul_f16_e32 v94, 0x3482, v75
	v_add_f16_e32 v95, v95, v97
	v_add_f16_e32 v93, v93, v96
	v_fma_f16 v96, v67, s15, -v94
	v_mul_f16_e32 v97, 0x3482, v68
	v_fma_f16 v94, v67, s15, v94
	v_add_f16_e32 v96, v96, v99
	v_fma_f16 v99, v90, s15, v97
	v_add_f16_e32 v94, v94, v98
	v_fma_f16 v97, v90, s15, -v97
	v_mul_f16_e32 v98, 0x3beb, v75
	v_add_f16_e32 v99, v99, v101
	v_add_f16_e32 v97, v97, v100
	v_fma_f16 v100, v67, s13, -v98
	v_mul_f16_e32 v101, 0x3beb, v68
	v_add_f16_e32 v100, v100, v103
	v_fma_f16 v103, v90, s13, v101
	v_fma_f16 v101, v90, s13, -v101
	v_mul_f16_e32 v68, 0x3853, v68
	v_fma_f16 v98, v67, s13, v98
	v_add_f16_e32 v101, v101, v104
	v_mul_f16_e32 v75, 0x3853, v75
	v_fma_f16 v104, v90, s5, v68
	v_fma_f16 v68, v90, s5, -v68
	v_add_f16_e32 v98, v98, v102
	v_fma_f16 v102, v67, s5, -v75
	v_fma_f16 v67, v67, s5, v75
	v_add_f16_e32 v66, v68, v66
	v_add_f16_e32 v68, v69, v74
	v_sub_f16_e32 v69, v69, v74
	v_sub_f16_e32 v74, v81, v86
	v_add_f16_e32 v67, v67, v78
	v_mul_f16_e32 v78, 0xbbeb, v74
	v_add_f16_e32 v75, v81, v86
	v_fma_f16 v81, v68, s13, -v78
	v_mul_f16_e32 v86, 0xbbeb, v69
	v_fma_f16 v78, v68, s13, v78
	v_add_f16_e32 v81, v81, v87
	v_fma_f16 v87, v75, s13, v86
	v_add_f16_e32 v78, v78, v80
	v_fma_f16 v80, v75, s13, -v86
	v_mul_f16_e32 v86, 0x3482, v74
	v_add_f16_e32 v80, v80, v88
	v_fma_f16 v88, v68, s15, -v86
	v_mul_f16_e32 v90, 0x3482, v69
	v_fma_f16 v86, v68, s15, v86
	v_add_f16_e32 v87, v87, v91
	v_fma_f16 v91, v75, s15, v90
	v_add_f16_e32 v86, v86, v89
	v_fma_f16 v89, v75, s15, -v90
	v_mul_f16_e32 v90, 0x3b47, v74
	v_add_f16_e32 v88, v88, v92
	v_fma_f16 v92, v68, s4, -v90
	v_fma_f16 v90, v68, s4, v90
	v_add_f16_e32 v89, v89, v93
	v_mul_f16_e32 v93, 0x3b47, v69
	v_add_f16_e32 v90, v90, v94
	v_mul_f16_e32 v94, 0xb853, v74
	v_add_f16_e32 v91, v91, v95
	v_add_f16_e32 v92, v92, v96
	v_fma_f16 v95, v75, s4, v93
	v_fma_f16 v93, v75, s4, -v93
	v_fma_f16 v96, v68, s5, -v94
	v_fma_f16 v94, v68, s5, v94
	v_mul_f16_e32 v74, 0xba0c, v74
	v_add_f16_e32 v93, v93, v97
	v_mul_f16_e32 v97, 0xb853, v69
	v_add_f16_e32 v94, v94, v98
	v_fma_f16 v98, v68, s14, -v74
	v_mul_f16_e32 v69, 0xba0c, v69
	v_fma_f16 v68, v68, s14, v74
	v_add_f16_e32 v67, v68, v67
	v_fma_f16 v68, v75, s14, -v69
	v_add_f16_e32 v66, v68, v66
	v_add_f16_e32 v68, v70, v73
	v_sub_f16_e32 v70, v70, v73
	v_sub_f16_e32 v73, v82, v85
	v_mul_f16_e32 v74, 0xba0c, v73
	v_add_f16_e32 v95, v95, v99
	v_add_f16_e32 v96, v96, v100
	v_fma_f16 v99, v75, s5, v97
	v_fma_f16 v97, v75, s5, -v97
	v_fma_f16 v100, v75, s14, v69
	v_fma_f16 v75, v68, s14, -v74
	v_add_f16_e32 v69, v82, v85
	v_add_f16_e32 v75, v75, v81
	v_mul_f16_e32 v81, 0xba0c, v70
	v_fma_f16 v74, v68, s14, v74
	v_add_f16_e32 v74, v74, v78
	v_fma_f16 v78, v69, s14, -v81
	v_add_f16_e32 v78, v78, v80
	v_mul_f16_e32 v80, 0x3beb, v73
	v_fma_f16 v82, v69, s14, v81
	v_fma_f16 v81, v68, s13, -v80
	v_fma_f16 v80, v68, s13, v80
	v_mul_f16_e32 v85, 0x3beb, v70
	v_add_f16_e32 v80, v80, v86
	v_mul_f16_e32 v86, 0xb853, v73
	v_add_f16_e32 v82, v82, v87
	v_add_f16_e32 v81, v81, v88
	v_fma_f16 v87, v69, s13, v85
	v_fma_f16 v85, v69, s13, -v85
	v_fma_f16 v88, v68, s5, -v86
	v_fma_f16 v86, v68, s5, v86
	v_add_f16_e32 v85, v85, v89
	v_mul_f16_e32 v89, 0xb853, v70
	v_add_f16_e32 v86, v86, v90
	v_mul_f16_e32 v90, 0xb482, v73
	v_add_f16_e32 v87, v87, v91
	v_add_f16_e32 v88, v88, v92
	v_fma_f16 v91, v69, s5, v89
	v_fma_f16 v89, v69, s5, -v89
	v_fma_f16 v92, v68, s15, -v90
	v_fma_f16 v90, v68, s15, v90
	v_mul_f16_e32 v73, 0x3b47, v73
	v_add_f16_e32 v89, v89, v93
	v_mul_f16_e32 v93, 0xb482, v70
	v_add_f16_e32 v90, v90, v94
	v_fma_f16 v94, v68, s4, -v73
	v_mul_f16_e32 v70, 0x3b47, v70
	v_fma_f16 v68, v68, s4, v73
	v_add_f16_e32 v67, v68, v67
	v_fma_f16 v68, v69, s4, -v70
	v_add_f16_e32 v92, v92, v96
	v_fma_f16 v96, v69, s4, v70
	v_add_f16_e32 v66, v68, v66
	v_add_f16_e32 v68, v71, v72
	v_sub_f16_e32 v70, v71, v72
	v_sub_f16_e32 v71, v83, v84
	v_mul_f16_e32 v72, 0xb482, v71
	v_fma_f16 v73, v68, s15, -v72
	v_add_f16_e32 v91, v91, v95
	v_fma_f16 v95, v69, s15, v93
	v_fma_f16 v93, v69, s15, -v93
	v_add_f16_e32 v69, v83, v84
	v_add_f16_e32 v73, v73, v75
	v_mul_f16_e32 v75, 0xb482, v70
	v_fma_f16 v72, v68, s15, v72
	v_fma_f16 v83, v69, s15, v75
	v_add_f16_e32 v72, v72, v74
	v_fma_f16 v74, v69, s15, -v75
	v_mul_f16_e32 v75, 0x3853, v71
	v_add_f16_e32 v74, v74, v78
	v_fma_f16 v78, v68, s5, -v75
	v_add_f16_e32 v78, v78, v81
	v_mul_f16_e32 v81, 0x3853, v70
	v_fma_f16 v75, v68, s5, v75
	v_add_f16_e32 v82, v83, v82
	v_fma_f16 v83, v69, s5, v81
	v_add_f16_e32 v75, v75, v80
	v_fma_f16 v80, v69, s5, -v81
	v_mul_f16_e32 v81, 0xba0c, v71
	v_fma_f16 v84, v68, s14, -v81
	v_fma_f16 v81, v68, s14, v81
	v_add_f16_e32 v80, v80, v85
	v_mul_f16_e32 v85, 0xba0c, v70
	v_add_f16_e32 v81, v81, v86
	v_mul_f16_e32 v86, 0x3b47, v71
	v_add_f16_e32 v83, v83, v87
	v_add_f16_e32 v84, v84, v88
	v_fma_f16 v87, v69, s14, v85
	v_fma_f16 v85, v69, s14, -v85
	v_fma_f16 v88, v68, s4, -v86
	v_fma_f16 v86, v68, s4, v86
	v_mul_f16_e32 v71, 0xbbeb, v71
	v_add_f16_e32 v97, v97, v101
	v_add_f16_e32 v85, v85, v89
	v_mul_f16_e32 v89, 0x3b47, v70
	v_add_f16_e32 v86, v86, v90
	v_fma_f16 v90, v68, s13, -v71
	v_mul_f16_e32 v70, 0xbbeb, v70
	v_fma_f16 v68, v68, s13, v71
	v_add_f16_e32 v93, v93, v97
	v_add_f16_e32 v87, v87, v91
	v_fma_f16 v91, v69, s4, v89
	v_fma_f16 v89, v69, s4, -v89
	v_add_f16_e32 v67, v68, v67
	v_fma_f16 v68, v69, s13, -v70
	v_add_f16_e32 v89, v89, v93
	v_add_f16_e32 v66, v68, v66
	;; [unrolled: 1-line block ×6, first 2 shown]
	v_fma_f16 v92, v69, s13, v70
	v_pack_b32_f16 v68, v76, v79
	v_pack_b32_f16 v69, v73, v82
	;; [unrolled: 1-line block ×4, first 2 shown]
	v_add_f16_e32 v99, v99, v103
	v_add_f16_e32 v98, v98, v102
	;; [unrolled: 1-line block ×3, first 2 shown]
	ds_write2_b32 v37, v68, v69 offset1:165
	ds_write2_b32 v35, v66, v67 offset0:30 offset1:195
	v_pack_b32_f16 v66, v81, v85
	v_pack_b32_f16 v67, v75, v80
	v_add_f16_e32 v95, v95, v99
	v_add_f16_e32 v94, v94, v98
	;; [unrolled: 1-line block ×3, first 2 shown]
	ds_write2_b32 v36, v66, v67 offset0:40 offset1:205
	v_pack_b32_f16 v66, v72, v74
	v_add_f16_e32 v91, v91, v95
	v_add_f16_e32 v90, v90, v94
	;; [unrolled: 1-line block ×3, first 2 shown]
	v_pack_b32_f16 v68, v78, v83
	v_pack_b32_f16 v69, v84, v87
	ds_write_b32 v37, v66 offset:6600
	v_add_co_u32_e64 v66, s[0:1], s0, v31
	ds_write2_b32 v33, v68, v69 offset0:74 offset1:239
	v_pack_b32_f16 v68, v88, v91
	v_pack_b32_f16 v69, v90, v92
	v_addc_co_u32_e64 v67, s[0:1], 0, v77, s[0:1]
	ds_write2_b32 v34, v68, v69 offset0:20 offset1:185
	s_waitcnt lgkmcnt(0)
	s_barrier
	global_load_dword v70, v[66:67], off offset:3164
	s_movk_i32 s0, 0x1c5c
	v_add_co_u32_e64 v66, s[0:1], s0, v31
	v_addc_co_u32_e64 v67, s[0:1], 0, v77, s[0:1]
	global_load_dword v71, v[66:67], off offset:660
	global_load_dword v72, v[66:67], off offset:1320
	;; [unrolled: 1-line block ×5, first 2 shown]
	s_movk_i32 s0, 0x2000
	v_add_co_u32_e64 v68, s[0:1], s0, v31
	v_addc_co_u32_e64 v69, s[0:1], 0, v77, s[0:1]
	global_load_dword v76, v[68:69], off offset:3688
	global_load_dword v78, v[66:67], off offset:3960
	s_movk_i32 s0, 0x3000
	v_add_co_u32_e64 v66, s[0:1], s0, v31
	v_addc_co_u32_e64 v67, s[0:1], 0, v77, s[0:1]
	global_load_dword v31, v[66:67], off offset:252
	global_load_dword v77, v[66:67], off offset:912
	;; [unrolled: 1-line block ×3, first 2 shown]
	ds_read2_b32 v[68:69], v37 offset1:165
	s_mov_b32 s1, 0xba0c
	s_mov_b32 s0, 0xbbeb
	s_waitcnt lgkmcnt(0)
	v_lshrrev_b32_e32 v66, 16, v68
	s_waitcnt vmcnt(10)
	v_mul_f16_sdwa v67, v66, v70 dst_sel:DWORD dst_unused:UNUSED_PAD src0_sel:DWORD src1_sel:WORD_1
	v_fma_f16 v67, v68, v70, -v67
	v_mul_f16_sdwa v68, v68, v70 dst_sel:DWORD dst_unused:UNUSED_PAD src0_sel:DWORD src1_sel:WORD_1
	v_fma_f16 v66, v66, v70, v68
	v_pack_b32_f16 v66, v67, v66
	v_lshrrev_b32_e32 v67, 16, v69
	s_waitcnt vmcnt(9)
	v_mul_f16_sdwa v68, v67, v71 dst_sel:DWORD dst_unused:UNUSED_PAD src0_sel:DWORD src1_sel:WORD_1
	v_fma_f16 v68, v69, v71, -v68
	v_mul_f16_sdwa v69, v69, v71 dst_sel:DWORD dst_unused:UNUSED_PAD src0_sel:DWORD src1_sel:WORD_1
	v_fma_f16 v67, v67, v71, v69
	v_pack_b32_f16 v67, v68, v67
	ds_write2_b32 v37, v66, v67 offset1:165
	ds_read2_b32 v[66:67], v33 offset0:74 offset1:239
	s_waitcnt lgkmcnt(0)
	v_lshrrev_b32_e32 v68, 16, v66
	s_waitcnt vmcnt(8)
	v_mul_f16_sdwa v69, v68, v72 dst_sel:DWORD dst_unused:UNUSED_PAD src0_sel:DWORD src1_sel:WORD_1
	v_fma_f16 v69, v66, v72, -v69
	v_mul_f16_sdwa v66, v66, v72 dst_sel:DWORD dst_unused:UNUSED_PAD src0_sel:DWORD src1_sel:WORD_1
	v_lshrrev_b32_e32 v70, 16, v67
	v_fma_f16 v66, v68, v72, v66
	s_waitcnt vmcnt(7)
	v_mul_f16_sdwa v68, v70, v73 dst_sel:DWORD dst_unused:UNUSED_PAD src0_sel:DWORD src1_sel:WORD_1
	v_pack_b32_f16 v66, v69, v66
	v_fma_f16 v71, v67, v73, -v68
	ds_read2_b32 v[68:69], v34 offset0:20 offset1:185
	v_mul_f16_sdwa v67, v67, v73 dst_sel:DWORD dst_unused:UNUSED_PAD src0_sel:DWORD src1_sel:WORD_1
	v_fma_f16 v67, v70, v73, v67
	v_pack_b32_f16 v67, v71, v67
	ds_write2_b32 v33, v66, v67 offset0:74 offset1:239
	s_waitcnt lgkmcnt(1)
	v_lshrrev_b32_e32 v66, 16, v68
	s_waitcnt vmcnt(6)
	v_mul_f16_sdwa v67, v66, v74 dst_sel:DWORD dst_unused:UNUSED_PAD src0_sel:DWORD src1_sel:WORD_1
	v_fma_f16 v67, v68, v74, -v67
	v_mul_f16_sdwa v68, v68, v74 dst_sel:DWORD dst_unused:UNUSED_PAD src0_sel:DWORD src1_sel:WORD_1
	v_fma_f16 v66, v66, v74, v68
	v_lshrrev_b32_e32 v70, 16, v69
	v_pack_b32_f16 v68, v67, v66
	s_waitcnt vmcnt(5)
	v_mul_f16_sdwa v66, v70, v75 dst_sel:DWORD dst_unused:UNUSED_PAD src0_sel:DWORD src1_sel:WORD_1
	v_fma_f16 v71, v69, v75, -v66
	ds_read2_b32 v[66:67], v35 offset0:30 offset1:195
	v_mul_f16_sdwa v69, v69, v75 dst_sel:DWORD dst_unused:UNUSED_PAD src0_sel:DWORD src1_sel:WORD_1
	v_fma_f16 v69, v70, v75, v69
	v_pack_b32_f16 v69, v71, v69
	ds_write2_b32 v34, v68, v69 offset0:20 offset1:185
	s_waitcnt lgkmcnt(1)
	v_lshrrev_b32_e32 v68, 16, v66
	s_waitcnt vmcnt(3)
	v_mul_f16_sdwa v69, v68, v78 dst_sel:DWORD dst_unused:UNUSED_PAD src0_sel:DWORD src1_sel:WORD_1
	v_fma_f16 v69, v66, v78, -v69
	v_mul_f16_sdwa v66, v66, v78 dst_sel:DWORD dst_unused:UNUSED_PAD src0_sel:DWORD src1_sel:WORD_1
	v_lshrrev_b32_e32 v70, 16, v67
	v_fma_f16 v66, v68, v78, v66
	v_mul_f16_sdwa v68, v70, v76 dst_sel:DWORD dst_unused:UNUSED_PAD src0_sel:DWORD src1_sel:WORD_1
	v_pack_b32_f16 v66, v69, v66
	v_fma_f16 v71, v67, v76, -v68
	ds_read2_b32 v[68:69], v36 offset0:40 offset1:205
	v_mul_f16_sdwa v67, v67, v76 dst_sel:DWORD dst_unused:UNUSED_PAD src0_sel:DWORD src1_sel:WORD_1
	v_fma_f16 v67, v70, v76, v67
	v_pack_b32_f16 v67, v71, v67
	ds_write2_b32 v35, v66, v67 offset0:30 offset1:195
	s_waitcnt lgkmcnt(1)
	v_lshrrev_b32_e32 v66, 16, v68
	s_waitcnt vmcnt(2)
	v_mul_f16_sdwa v67, v66, v31 dst_sel:DWORD dst_unused:UNUSED_PAD src0_sel:DWORD src1_sel:WORD_1
	v_fma_f16 v67, v68, v31, -v67
	v_mul_f16_sdwa v68, v68, v31 dst_sel:DWORD dst_unused:UNUSED_PAD src0_sel:DWORD src1_sel:WORD_1
	v_fma_f16 v31, v66, v31, v68
	v_lshrrev_b32_e32 v66, 16, v69
	ds_read_b32 v68, v37 offset:6600
	v_pack_b32_f16 v31, v67, v31
	s_waitcnt vmcnt(1)
	v_mul_f16_sdwa v67, v66, v77 dst_sel:DWORD dst_unused:UNUSED_PAD src0_sel:DWORD src1_sel:WORD_1
	v_fma_f16 v67, v69, v77, -v67
	v_mul_f16_sdwa v69, v69, v77 dst_sel:DWORD dst_unused:UNUSED_PAD src0_sel:DWORD src1_sel:WORD_1
	v_fma_f16 v66, v66, v77, v69
	v_pack_b32_f16 v66, v67, v66
	ds_write2_b32 v36, v31, v66 offset0:40 offset1:205
	s_waitcnt lgkmcnt(1)
	v_lshrrev_b32_e32 v31, 16, v68
	s_waitcnt vmcnt(0)
	v_mul_f16_sdwa v66, v31, v79 dst_sel:DWORD dst_unused:UNUSED_PAD src0_sel:DWORD src1_sel:WORD_1
	v_mul_f16_sdwa v67, v68, v79 dst_sel:DWORD dst_unused:UNUSED_PAD src0_sel:DWORD src1_sel:WORD_1
	v_fma_f16 v66, v68, v79, -v66
	v_fma_f16 v31, v31, v79, v67
	v_pack_b32_f16 v31, v66, v31
	ds_write_b32 v37, v31 offset:6600
	s_waitcnt lgkmcnt(0)
	s_barrier
	ds_read2_b32 v[68:69], v37 offset1:165
	ds_read2_b32 v[66:67], v33 offset0:74 offset1:239
	ds_read2_b32 v[33:34], v34 offset0:20 offset1:185
	;; [unrolled: 1-line block ×4, first 2 shown]
	ds_read_b32 v31, v37 offset:6600
	s_waitcnt lgkmcnt(5)
	v_pk_add_f16 v72, v68, v69
	s_waitcnt lgkmcnt(4)
	v_pk_add_f16 v72, v72, v66
	v_pk_add_f16 v72, v72, v67
	s_waitcnt lgkmcnt(3)
	v_pk_add_f16 v72, v72, v33
	;; [unrolled: 3-line block ×5, first 2 shown]
	v_pk_add_f16 v73, v31, v69
	v_pk_add_f16 v31, v69, v31 neg_lo:[0,1] neg_hi:[0,1]
	v_pk_mul_f16 v69, v31, s20 op_sel_hi:[1,0]
	v_pk_add_f16 v88, v36, v66
	v_pk_add_f16 v36, v66, v36 neg_lo:[0,1] neg_hi:[0,1]
	v_pk_fma_f16 v74, v73, s5, v69 op_sel:[0,0,1] op_sel_hi:[1,0,0]
	v_pk_fma_f16 v69, v73, s5, v69 op_sel:[0,0,1] op_sel_hi:[1,0,0] neg_lo:[0,0,1] neg_hi:[0,0,1]
	v_pk_mul_f16 v66, v36, s19 op_sel_hi:[1,0]
	v_bfi_b32 v75, s12, v74, v69
	v_pk_fma_f16 v89, v88, s4, v66 op_sel:[0,0,1] op_sel_hi:[1,0,0]
	v_pk_fma_f16 v90, v88, s4, v66 op_sel:[0,0,1] op_sel_hi:[1,0,0] neg_lo:[0,0,1] neg_hi:[0,0,1]
	v_pk_add_f16 v75, v68, v75
	v_mul_f16_sdwa v76, v31, s19 dst_sel:DWORD dst_unused:UNUSED_PAD src0_sel:WORD_1 src1_sel:DWORD
	v_bfi_b32 v66, s12, v89, v90
	v_fma_f16 v77, v73, s4, v76
	v_pk_add_f16 v66, v66, v75
	v_mul_f16_sdwa v75, v36, s1 dst_sel:DWORD dst_unused:UNUSED_PAD src0_sel:WORD_1 src1_sel:DWORD
	v_add_f16_e32 v77, v68, v77
	v_mul_f16_sdwa v78, v73, s4 dst_sel:DWORD dst_unused:UNUSED_PAD src0_sel:WORD_1 src1_sel:DWORD
	v_fma_f16 v76, v73, s4, -v76
	v_fma_f16 v91, v88, s14, v75
	v_fma_f16 v79, v31, s16, v78
	v_add_f16_e32 v76, v68, v76
	v_fma_f16 v78, v31, s19, v78
	v_add_f16_e32 v77, v91, v77
	v_mul_f16_sdwa v91, v88, s14 dst_sel:DWORD dst_unused:UNUSED_PAD src0_sel:WORD_1 src1_sel:DWORD
	v_fma_f16 v75, v88, s14, -v75
	v_add_f16_sdwa v78, v68, v78 dst_sel:DWORD dst_unused:UNUSED_PAD src0_sel:WORD_1 src1_sel:DWORD
	v_mul_f16_sdwa v80, v31, s0 dst_sel:DWORD dst_unused:UNUSED_PAD src0_sel:WORD_1 src1_sel:DWORD
	v_add_f16_e32 v75, v75, v76
	v_fma_f16 v76, v36, s1, v91
	v_fma_f16 v81, v73, s13, v80
	v_add_f16_e32 v76, v76, v78
	v_mul_f16_sdwa v78, v36, s21 dst_sel:DWORD dst_unused:UNUSED_PAD src0_sel:WORD_1 src1_sel:DWORD
	v_add_f16_e32 v81, v68, v81
	v_mul_f16_sdwa v82, v73, s13 dst_sel:DWORD dst_unused:UNUSED_PAD src0_sel:WORD_1 src1_sel:DWORD
	v_fma_f16 v80, v73, s13, -v80
	v_fma_f16 v92, v36, s23, v91
	v_fma_f16 v91, v88, s15, v78
	;; [unrolled: 1-line block ×3, first 2 shown]
	v_add_f16_e32 v80, v68, v80
	v_fma_f16 v82, v31, s0, v82
	v_add_f16_e32 v81, v91, v81
	v_mul_f16_sdwa v91, v88, s15 dst_sel:DWORD dst_unused:UNUSED_PAD src0_sel:WORD_1 src1_sel:DWORD
	v_fma_f16 v78, v88, s15, -v78
	v_add_f16_sdwa v82, v68, v82 dst_sel:DWORD dst_unused:UNUSED_PAD src0_sel:WORD_1 src1_sel:DWORD
	v_mul_f16_sdwa v84, v31, s1 dst_sel:DWORD dst_unused:UNUSED_PAD src0_sel:WORD_1 src1_sel:DWORD
	v_add_f16_e32 v78, v78, v80
	v_fma_f16 v80, v36, s21, v91
	v_add_f16_sdwa v79, v68, v79 dst_sel:DWORD dst_unused:UNUSED_PAD src0_sel:WORD_1 src1_sel:DWORD
	v_fma_f16 v85, v73, s14, v84
	v_add_f16_e32 v80, v80, v82
	v_mul_f16_sdwa v82, v36, s22 dst_sel:DWORD dst_unused:UNUSED_PAD src0_sel:WORD_1 src1_sel:DWORD
	v_add_f16_e32 v85, v68, v85
	v_mul_f16_sdwa v86, v73, s14 dst_sel:DWORD dst_unused:UNUSED_PAD src0_sel:WORD_1 src1_sel:DWORD
	v_fma_f16 v84, v73, s14, -v84
	v_add_f16_e32 v79, v92, v79
	v_fma_f16 v92, v36, s17, v91
	v_fma_f16 v91, v88, s13, v82
	;; [unrolled: 1-line block ×3, first 2 shown]
	v_add_f16_e32 v84, v68, v84
	v_fma_f16 v86, v31, s1, v86
	v_add_f16_e32 v85, v91, v85
	v_mul_f16_sdwa v91, v88, s13 dst_sel:DWORD dst_unused:UNUSED_PAD src0_sel:WORD_1 src1_sel:DWORD
	v_fma_f16 v82, v88, s13, -v82
	v_add_f16_sdwa v86, v68, v86 dst_sel:DWORD dst_unused:UNUSED_PAD src0_sel:WORD_1 src1_sel:DWORD
	v_add_f16_e32 v82, v82, v84
	v_fma_f16 v84, v36, s22, v91
	v_add_f16_sdwa v83, v68, v83 dst_sel:DWORD dst_unused:UNUSED_PAD src0_sel:WORD_1 src1_sel:DWORD
	v_add_f16_e32 v84, v84, v86
	v_pk_add_f16 v86, v35, v67
	v_pk_add_f16 v35, v67, v35 neg_lo:[0,1] neg_hi:[0,1]
	v_add_f16_sdwa v87, v68, v87 dst_sel:DWORD dst_unused:UNUSED_PAD src0_sel:WORD_1 src1_sel:DWORD
	v_add_f16_e32 v83, v92, v83
	v_fma_f16 v92, v36, s0, v91
	v_pk_mul_f16 v67, v35, s0 op_sel_hi:[1,0]
	v_add_f16_e32 v87, v92, v87
	v_pk_fma_f16 v91, v86, s13, v67 op_sel:[0,0,1] op_sel_hi:[1,0,0]
	v_pk_fma_f16 v92, v86, s13, v67 op_sel:[0,0,1] op_sel_hi:[1,0,0] neg_lo:[0,0,1] neg_hi:[0,0,1]
	v_bfi_b32 v67, s12, v91, v92
	v_pk_add_f16 v66, v67, v66
	v_mul_f16_sdwa v67, v35, s21 dst_sel:DWORD dst_unused:UNUSED_PAD src0_sel:WORD_1 src1_sel:DWORD
	v_fma_f16 v93, v86, s15, v67
	v_add_f16_e32 v77, v93, v77
	v_mul_f16_sdwa v93, v86, s15 dst_sel:DWORD dst_unused:UNUSED_PAD src0_sel:WORD_1 src1_sel:DWORD
	v_fma_f16 v67, v86, s15, -v67
	v_add_f16_e32 v67, v67, v75
	v_fma_f16 v75, v35, s21, v93
	v_add_f16_e32 v75, v75, v76
	v_mul_f16_sdwa v76, v35, s16 dst_sel:DWORD dst_unused:UNUSED_PAD src0_sel:WORD_1 src1_sel:DWORD
	v_fma_f16 v94, v35, s17, v93
	v_fma_f16 v93, v86, s4, v76
	v_add_f16_e32 v81, v93, v81
	v_mul_f16_sdwa v93, v86, s4 dst_sel:DWORD dst_unused:UNUSED_PAD src0_sel:WORD_1 src1_sel:DWORD
	v_fma_f16 v76, v86, s4, -v76
	v_add_f16_e32 v76, v76, v78
	v_fma_f16 v78, v35, s16, v93
	v_add_f16_e32 v78, v78, v80
	v_mul_f16_sdwa v80, v35, s20 dst_sel:DWORD dst_unused:UNUSED_PAD src0_sel:WORD_1 src1_sel:DWORD
	v_add_f16_e32 v79, v94, v79
	v_fma_f16 v94, v35, s19, v93
	v_fma_f16 v93, v86, s5, v80
	v_add_f16_e32 v85, v93, v85
	v_mul_f16_sdwa v93, v86, s5 dst_sel:DWORD dst_unused:UNUSED_PAD src0_sel:WORD_1 src1_sel:DWORD
	v_fma_f16 v80, v86, s5, -v80
	v_add_f16_e32 v80, v80, v82
	v_fma_f16 v82, v35, s20, v93
	v_add_f16_e32 v82, v82, v84
	v_pk_add_f16 v84, v71, v33
	v_pk_add_f16 v33, v33, v71 neg_lo:[0,1] neg_hi:[0,1]
	v_pk_mul_f16 v71, v33, s1 op_sel_hi:[1,0]
	v_add_f16_e32 v83, v94, v83
	v_fma_f16 v94, v35, s18, v93
	v_pk_fma_f16 v93, v84, s14, v71 op_sel:[0,0,1] op_sel_hi:[1,0,0]
	v_pk_fma_f16 v71, v84, s14, v71 op_sel:[0,0,1] op_sel_hi:[1,0,0] neg_lo:[0,0,1] neg_hi:[0,0,1]
	v_add_f16_e32 v87, v94, v87
	v_bfi_b32 v94, s12, v93, v71
	v_pk_add_f16 v66, v94, v66
	v_mul_f16_sdwa v94, v33, s22 dst_sel:DWORD dst_unused:UNUSED_PAD src0_sel:WORD_1 src1_sel:DWORD
	v_fma_f16 v95, v84, s13, v94
	v_add_f16_e32 v77, v95, v77
	v_mul_f16_sdwa v95, v84, s13 dst_sel:DWORD dst_unused:UNUSED_PAD src0_sel:WORD_1 src1_sel:DWORD
	v_fma_f16 v94, v84, s13, -v94
	v_add_f16_e32 v67, v94, v67
	v_fma_f16 v94, v33, s22, v95
	v_add_f16_e32 v75, v94, v75
	v_mul_f16_sdwa v94, v33, s20 dst_sel:DWORD dst_unused:UNUSED_PAD src0_sel:WORD_1 src1_sel:DWORD
	v_fma_f16 v96, v33, s0, v95
	v_fma_f16 v95, v84, s5, v94
	v_add_f16_e32 v81, v95, v81
	v_mul_f16_sdwa v95, v84, s5 dst_sel:DWORD dst_unused:UNUSED_PAD src0_sel:WORD_1 src1_sel:DWORD
	v_fma_f16 v94, v84, s5, -v94
	v_add_f16_e32 v76, v94, v76
	v_fma_f16 v94, v33, s20, v95
	v_add_f16_e32 v78, v94, v78
	v_mul_f16_sdwa v94, v33, s17 dst_sel:DWORD dst_unused:UNUSED_PAD src0_sel:WORD_1 src1_sel:DWORD
	v_add_f16_e32 v79, v96, v79
	v_fma_f16 v96, v33, s18, v95
	v_fma_f16 v95, v84, s15, v94
	v_add_f16_e32 v85, v95, v85
	v_mul_f16_sdwa v95, v84, s15 dst_sel:DWORD dst_unused:UNUSED_PAD src0_sel:WORD_1 src1_sel:DWORD
	v_fma_f16 v94, v84, s15, -v94
	v_add_f16_e32 v80, v94, v80
	v_fma_f16 v94, v33, s17, v95
	v_add_f16_e32 v82, v94, v82
	v_pk_add_f16 v94, v70, v34
	v_pk_add_f16 v34, v34, v70 neg_lo:[0,1] neg_hi:[0,1]
	v_pk_mul_f16 v70, v34, s17 op_sel_hi:[1,0]
	v_add_f16_e32 v83, v96, v83
	v_fma_f16 v96, v33, s21, v95
	v_pk_fma_f16 v95, v94, s15, v70 op_sel:[0,0,1] op_sel_hi:[1,0,0]
	v_pk_fma_f16 v70, v94, s15, v70 op_sel:[0,0,1] op_sel_hi:[1,0,0] neg_lo:[0,0,1] neg_hi:[0,0,1]
	v_add_f16_e32 v87, v96, v87
	v_bfi_b32 v96, s12, v95, v70
	v_pk_add_f16 v96, v96, v66
	v_mul_f16_sdwa v66, v34, s18 dst_sel:DWORD dst_unused:UNUSED_PAD src0_sel:WORD_1 src1_sel:DWORD
	v_fma_f16 v97, v94, s5, v66
	v_add_f16_e32 v77, v97, v77
	v_mul_f16_sdwa v97, v94, s5 dst_sel:DWORD dst_unused:UNUSED_PAD src0_sel:WORD_1 src1_sel:DWORD
	v_fma_f16 v66, v94, s5, -v66
	v_add_f16_e32 v66, v66, v67
	v_fma_f16 v67, v34, s18, v97
	v_add_f16_e32 v67, v67, v75
	v_mul_f16_sdwa v75, v34, s1 dst_sel:DWORD dst_unused:UNUSED_PAD src0_sel:WORD_1 src1_sel:DWORD
	v_fma_f16 v98, v34, s20, v97
	v_fma_f16 v97, v94, s14, v75
	v_add_f16_e32 v81, v97, v81
	v_mul_f16_sdwa v97, v94, s14 dst_sel:DWORD dst_unused:UNUSED_PAD src0_sel:WORD_1 src1_sel:DWORD
	v_fma_f16 v75, v94, s14, -v75
	v_add_f16_e32 v75, v75, v76
	v_fma_f16 v76, v34, s1, v97
	v_add_f16_e32 v76, v76, v78
	v_mul_f16_sdwa v78, v34, s16 dst_sel:DWORD dst_unused:UNUSED_PAD src0_sel:WORD_1 src1_sel:DWORD
	v_add_f16_e32 v79, v98, v79
	v_fma_f16 v98, v34, s23, v97
	v_fma_f16 v97, v94, s4, v78
	v_add_f16_e32 v85, v97, v85
	v_mul_f16_sdwa v97, v94, s4 dst_sel:DWORD dst_unused:UNUSED_PAD src0_sel:WORD_1 src1_sel:DWORD
	v_add_f16_e32 v83, v98, v83
	v_fma_f16 v98, v34, s19, v97
	s_barrier
	v_add_f16_e32 v87, v98, v87
	ds_write2_b32 v32, v72, v96 offset1:1
	v_pack_b32_f16 v72, v81, v83
	v_pack_b32_f16 v77, v77, v79
	ds_write2_b32 v32, v77, v72 offset0:2 offset1:3
	v_pack_b32_f16 v72, v85, v87
	ds_write_b32 v32, v72 offset:16
	v_pk_mul_f16 v72, v73, s15 op_sel_hi:[1,0]
	v_pk_fma_f16 v73, v31, s17, v72 op_sel:[0,0,1] op_sel_hi:[1,0,0]
	v_pk_fma_f16 v31, v31, s17, v72 op_sel:[0,0,1] op_sel_hi:[1,0,0] neg_lo:[1,0,0] neg_hi:[1,0,0]
	v_alignbit_b32 v72, s0, v68, 16
	v_alignbit_b32 v77, s0, v73, 16
	v_pk_add_f16 v72, v72, v73
	v_pk_mul_f16 v73, v88, s5 op_sel_hi:[1,0]
	v_pk_add_f16 v31, v68, v31 op_sel:[1,0] op_sel_hi:[0,1]
	v_pk_fma_f16 v79, v36, s18, v73 op_sel:[0,0,1] op_sel_hi:[1,0,0]
	v_pk_fma_f16 v36, v36, s18, v73 op_sel:[0,0,1] op_sel_hi:[1,0,0] neg_lo:[1,0,0] neg_hi:[1,0,0]
	v_pk_add_f16 v31, v36, v31
	v_pk_add_f16 v36, v79, v72
	v_pk_mul_f16 v72, v86, s14 op_sel_hi:[1,0]
	v_pk_fma_f16 v73, v35, s1, v72 op_sel:[0,0,1] op_sel_hi:[1,0,0]
	v_pk_fma_f16 v35, v35, s1, v72 op_sel:[0,0,1] op_sel_hi:[1,0,0] neg_lo:[1,0,0] neg_hi:[1,0,0]
	v_pk_add_f16 v31, v35, v31
	v_pk_add_f16 v35, v73, v36
	v_pk_mul_f16 v36, v84, s4 op_sel_hi:[1,0]
	v_pk_add_f16 v77, v68, v77
	v_alignbit_b32 v81, s0, v79, 16
	v_pk_fma_f16 v72, v33, s16, v36 op_sel:[0,0,1] op_sel_hi:[1,0,0]
	v_pk_fma_f16 v33, v33, s16, v36 op_sel:[0,0,1] op_sel_hi:[1,0,0] neg_lo:[1,0,0] neg_hi:[1,0,0]
	v_pk_add_f16 v77, v81, v77
	v_alignbit_b32 v79, s0, v73, 16
	v_pk_add_f16 v31, v33, v31
	v_pk_add_f16 v33, v72, v35
	v_pk_mul_f16 v35, v94, s13 op_sel_hi:[1,0]
	v_fma_f16 v78, v94, s4, -v78
	v_pk_add_f16 v77, v79, v77
	v_alignbit_b32 v73, s0, v72, 16
	v_pk_fma_f16 v36, v34, s0, v35 op_sel:[0,0,1] op_sel_hi:[1,0,0]
	v_add_f16_e32 v78, v78, v80
	v_fma_f16 v80, v34, s16, v97
	v_pk_add_f16 v73, v73, v77
	v_alignbit_b32 v72, s0, v36, 16
	v_pk_fma_f16 v34, v34, s0, v35 op_sel:[0,0,1] op_sel_hi:[1,0,0] neg_lo:[1,0,0] neg_hi:[1,0,0]
	v_pk_add_f16 v72, v72, v73
	v_pk_add_f16 v31, v34, v31
	;; [unrolled: 1-line block ×3, first 2 shown]
	v_add_f16_e32 v80, v80, v82
	v_alignbit_b32 v33, v33, v31, 16
	v_pack_b32_f16 v31, v72, v31
	ds_write2_b32 v32, v31, v33 offset0:5 offset1:6
	v_pack_b32_f16 v31, v75, v76
	v_pack_b32_f16 v33, v78, v80
	ds_write2_b32 v32, v33, v31 offset0:7 offset1:8
	v_bfi_b32 v31, s12, v69, v74
	v_pk_add_f16 v31, v68, v31
	v_bfi_b32 v33, s12, v90, v89
	v_pk_add_f16 v31, v33, v31
	;; [unrolled: 2-line block ×5, first 2 shown]
	v_pack_b32_f16 v31, v66, v67
	v_add_u32_e32 v33, 0x900, v37
	v_add_u32_e32 v35, 0x1200, v37
	ds_write2_b32 v32, v31, v69 offset0:9 offset1:10
	s_waitcnt lgkmcnt(0)
	s_barrier
	ds_read2_b32 v[31:32], v37 offset1:165
	ds_read2_b32 v[33:34], v33 offset0:29 offset1:194
	ds_read2_b32 v[35:36], v35 offset0:58 offset1:223
	ds_read_b32 v68, v37 offset:1320
	ds_read_b32 v71, v37 offset:3740
	;; [unrolled: 1-line block ×3, first 2 shown]
	v_lshrrev_b32_e32 v72, 16, v69
	s_and_saveexec_b64 s[0:1], s[2:3]
	s_cbranch_execz .LBB0_11
; %bb.10:
	ds_read_b32 v66, v37 offset:1980
	ds_read_b32 v69, v37 offset:4400
	;; [unrolled: 1-line block ×3, first 2 shown]
	s_waitcnt lgkmcnt(2)
	v_lshrrev_b32_e32 v67, 16, v66
	s_waitcnt lgkmcnt(1)
	v_lshrrev_b32_e32 v72, 16, v69
	;; [unrolled: 2-line block ×3, first 2 shown]
.LBB0_11:
	s_or_b64 exec, exec, s[0:1]
	s_waitcnt lgkmcnt(4)
	v_lshrrev_b32_e32 v74, 16, v33
	v_mul_f16_sdwa v82, v21, v74 dst_sel:DWORD dst_unused:UNUSED_PAD src0_sel:WORD_1 src1_sel:DWORD
	s_waitcnt lgkmcnt(3)
	v_lshrrev_b32_e32 v75, 16, v35
	v_fma_f16 v82, v21, v33, v82
	v_mul_f16_sdwa v33, v21, v33 dst_sel:DWORD dst_unused:UNUSED_PAD src0_sel:WORD_1 src1_sel:DWORD
	v_fma_f16 v33, v21, v74, -v33
	v_mul_f16_sdwa v21, v22, v75 dst_sel:DWORD dst_unused:UNUSED_PAD src0_sel:WORD_1 src1_sel:DWORD
	v_lshrrev_b32_e32 v77, 16, v34
	v_fma_f16 v74, v22, v35, v21
	v_mul_f16_sdwa v21, v22, v35 dst_sel:DWORD dst_unused:UNUSED_PAD src0_sel:WORD_1 src1_sel:DWORD
	v_fma_f16 v35, v22, v75, -v21
	v_mul_f16_sdwa v21, v23, v77 dst_sel:DWORD dst_unused:UNUSED_PAD src0_sel:WORD_1 src1_sel:DWORD
	;; [unrolled: 5-line block ×3, first 2 shown]
	s_waitcnt lgkmcnt(1)
	v_lshrrev_b32_e32 v80, 16, v71
	v_fma_f16 v77, v24, v36, v21
	v_mul_f16_sdwa v21, v24, v36 dst_sel:DWORD dst_unused:UNUSED_PAD src0_sel:WORD_1 src1_sel:DWORD
	v_fma_f16 v36, v24, v78, -v21
	v_mul_f16_sdwa v21, v25, v80 dst_sel:DWORD dst_unused:UNUSED_PAD src0_sel:WORD_1 src1_sel:DWORD
	s_waitcnt lgkmcnt(0)
	v_lshrrev_b32_e32 v81, 16, v70
	v_fma_f16 v78, v25, v71, v21
	v_mul_f16_sdwa v21, v25, v71 dst_sel:DWORD dst_unused:UNUSED_PAD src0_sel:WORD_1 src1_sel:DWORD
	v_fma_f16 v25, v25, v80, -v21
	v_mul_f16_sdwa v21, v26, v81 dst_sel:DWORD dst_unused:UNUSED_PAD src0_sel:WORD_1 src1_sel:DWORD
	v_mul_f16_sdwa v22, v27, v69 dst_sel:DWORD dst_unused:UNUSED_PAD src0_sel:WORD_1 src1_sel:DWORD
	v_fma_f16 v71, v26, v70, v21
	v_mul_f16_sdwa v21, v26, v70 dst_sel:DWORD dst_unused:UNUSED_PAD src0_sel:WORD_1 src1_sel:DWORD
	v_fma_f16 v23, v27, v72, -v22
	v_mul_f16_sdwa v22, v28, v65 dst_sel:DWORD dst_unused:UNUSED_PAD src0_sel:WORD_1 src1_sel:DWORD
	v_mul_f16_sdwa v24, v28, v64 dst_sel:DWORD dst_unused:UNUSED_PAD src0_sel:WORD_1 src1_sel:DWORD
	v_fma_f16 v26, v26, v81, -v21
	v_mul_f16_sdwa v21, v27, v72 dst_sel:DWORD dst_unused:UNUSED_PAD src0_sel:WORD_1 src1_sel:DWORD
	v_fma_f16 v22, v28, v64, v22
	v_fma_f16 v24, v28, v65, -v24
	v_add_f16_e32 v28, v82, v74
	v_lshrrev_b32_e32 v73, 16, v31
	v_fma_f16 v21, v27, v69, v21
	v_add_f16_e32 v27, v31, v82
	v_fma_f16 v28, v28, -0.5, v31
	v_sub_f16_e32 v31, v33, v35
	s_mov_b32 s0, 0xbaee
	s_movk_i32 s1, 0x3aee
	v_fma_f16 v64, v31, s0, v28
	v_fma_f16 v28, v31, s1, v28
	v_add_f16_e32 v31, v73, v33
	v_add_f16_e32 v33, v33, v35
	;; [unrolled: 1-line block ×3, first 2 shown]
	v_fma_f16 v33, v33, -0.5, v73
	v_sub_f16_e32 v35, v82, v74
	v_fma_f16 v65, v35, s1, v33
	v_fma_f16 v69, v35, s0, v33
	v_add_f16_e32 v33, v32, v75
	v_add_f16_e32 v70, v33, v77
	;; [unrolled: 1-line block ×3, first 2 shown]
	v_lshrrev_b32_e32 v76, 16, v32
	v_fma_f16 v32, v33, -0.5, v32
	v_sub_f16_e32 v33, v34, v36
	v_fma_f16 v72, v33, s0, v32
	v_fma_f16 v32, v33, s1, v32
	v_add_f16_e32 v33, v76, v34
	v_add_f16_e32 v73, v33, v36
	;; [unrolled: 1-line block ×3, first 2 shown]
	v_fma_f16 v33, v33, -0.5, v76
	v_sub_f16_e32 v34, v75, v77
	v_add_f16_e32 v27, v27, v74
	v_fma_f16 v74, v34, s1, v33
	v_fma_f16 v75, v34, s0, v33
	v_add_f16_e32 v33, v68, v78
	v_add_f16_e32 v76, v33, v71
	v_add_f16_e32 v33, v78, v71
	v_lshrrev_b32_e32 v79, 16, v68
	v_fma_f16 v33, v33, -0.5, v68
	v_sub_f16_e32 v34, v25, v26
	v_fma_f16 v68, v34, s0, v33
	v_fma_f16 v77, v34, s1, v33
	v_add_f16_e32 v33, v79, v25
	v_add_f16_e32 v25, v25, v26
	;; [unrolled: 1-line block ×3, first 2 shown]
	v_fma_f16 v25, v25, -0.5, v79
	v_sub_f16_e32 v26, v78, v71
	v_fma_f16 v71, v26, s1, v25
	v_fma_f16 v25, v26, s0, v25
	v_add_f16_e32 v26, v21, v22
	v_fma_f16 v26, v26, -0.5, v66
	v_sub_f16_e32 v34, v23, v24
	v_fma_f16 v33, v34, s0, v26
	v_fma_f16 v35, v34, s1, v26
	v_add_f16_e32 v26, v23, v24
	v_fma_f16 v26, v26, -0.5, v67
	v_sub_f16_e32 v36, v21, v22
	v_fma_f16 v34, v36, s1, v26
	v_fma_f16 v36, v36, s0, v26
	v_pack_b32_f16 v26, v27, v31
	v_pack_b32_f16 v27, v64, v65
	s_barrier
	ds_write2_b32 v52, v26, v27 offset1:11
	v_pack_b32_f16 v26, v28, v69
	ds_write_b32 v52, v26 offset:88
	v_pack_b32_f16 v26, v70, v73
	v_pack_b32_f16 v27, v72, v74
	ds_write2_b32 v53, v26, v27 offset1:11
	v_pack_b32_f16 v26, v32, v75
	ds_write_b32 v53, v26 offset:88
	v_pack_b32_f16 v26, v76, v80
	v_pack_b32_f16 v27, v68, v71
	;; [unrolled: 1-line block ×3, first 2 shown]
	ds_write2_b32 v54, v26, v27 offset1:11
	ds_write_b32 v54, v25 offset:88
	s_and_saveexec_b64 s[0:1], s[2:3]
	s_cbranch_execz .LBB0_13
; %bb.12:
	v_add_f16_e32 v23, v67, v23
	v_add_f16_e32 v21, v66, v21
	v_add_f16_e32 v23, v23, v24
	v_add_f16_e32 v21, v21, v22
	v_mad_legacy_u16 v22, v50, 33, v51
	s_mov_b32 s2, 0x5040100
	v_lshlrev_b32_e32 v22, 2, v22
	v_pack_b32_f16 v21, v21, v23
	v_perm_b32 v23, v34, v33, s2
	ds_write2_b32 v22, v21, v23 offset1:11
	v_perm_b32 v21, v36, v35, s2
	ds_write_b32 v22, v21 offset:88
.LBB0_13:
	s_or_b64 exec, exec, s[0:1]
	v_add_u32_e32 v23, 0x500, v37
	v_add_u32_e32 v25, 0xa00, v37
	;; [unrolled: 1-line block ×4, first 2 shown]
	s_waitcnt lgkmcnt(0)
	s_barrier
	ds_read2_b32 v[21:22], v37 offset1:165
	ds_read2_b32 v[23:24], v23 offset0:43 offset1:208
	ds_read2_b32 v[25:26], v25 offset0:86 offset1:251
	;; [unrolled: 1-line block ×4, first 2 shown]
	s_and_saveexec_b64 s[0:1], vcc
	s_cbranch_execz .LBB0_15
; %bb.14:
	ds_read_b32 v33, v37 offset:1320
	ds_read_b32 v35, v37 offset:2772
	;; [unrolled: 1-line block ×5, first 2 shown]
	s_waitcnt lgkmcnt(4)
	v_lshrrev_b32_e32 v34, 16, v33
	s_waitcnt lgkmcnt(3)
	v_lshrrev_b32_e32 v36, 16, v35
	;; [unrolled: 2-line block ×5, first 2 shown]
.LBB0_15:
	s_or_b64 exec, exec, s[0:1]
	s_waitcnt lgkmcnt(3)
	v_lshrrev_b32_e32 v51, 16, v23
	v_mul_f16_sdwa v69, v8, v51 dst_sel:DWORD dst_unused:UNUSED_PAD src0_sel:WORD_1 src1_sel:DWORD
	s_waitcnt lgkmcnt(2)
	v_lshrrev_b32_e32 v52, 16, v25
	v_fma_f16 v69, v8, v23, v69
	v_mul_f16_sdwa v23, v8, v23 dst_sel:DWORD dst_unused:UNUSED_PAD src0_sel:WORD_1 src1_sel:DWORD
	v_fma_f16 v8, v8, v51, -v23
	v_mul_f16_sdwa v23, v9, v52 dst_sel:DWORD dst_unused:UNUSED_PAD src0_sel:WORD_1 src1_sel:DWORD
	s_waitcnt lgkmcnt(1)
	v_lshrrev_b32_e32 v53, 16, v27
	v_fma_f16 v23, v9, v25, v23
	v_mul_f16_sdwa v25, v9, v25 dst_sel:DWORD dst_unused:UNUSED_PAD src0_sel:WORD_1 src1_sel:DWORD
	v_fma_f16 v9, v9, v52, -v25
	;; [unrolled: 6-line block ×3, first 2 shown]
	v_mul_f16_sdwa v27, v11, v54 dst_sel:DWORD dst_unused:UNUSED_PAD src0_sel:WORD_1 src1_sel:DWORD
	v_lshrrev_b32_e32 v65, 16, v24
	v_fma_f16 v27, v11, v31, v27
	v_mul_f16_sdwa v31, v11, v31 dst_sel:DWORD dst_unused:UNUSED_PAD src0_sel:WORD_1 src1_sel:DWORD
	v_fma_f16 v11, v11, v54, -v31
	v_mul_f16_sdwa v31, v4, v65 dst_sel:DWORD dst_unused:UNUSED_PAD src0_sel:WORD_1 src1_sel:DWORD
	v_lshrrev_b32_e32 v66, 16, v26
	v_fma_f16 v31, v4, v24, v31
	v_mul_f16_sdwa v24, v4, v24 dst_sel:DWORD dst_unused:UNUSED_PAD src0_sel:WORD_1 src1_sel:DWORD
	v_fma_f16 v4, v4, v65, -v24
	;; [unrolled: 5-line block ×3, first 2 shown]
	v_mul_f16_sdwa v26, v6, v67 dst_sel:DWORD dst_unused:UNUSED_PAD src0_sel:WORD_1 src1_sel:DWORD
	v_add_f16_e32 v51, v23, v25
	v_lshrrev_b32_e32 v68, 16, v32
	v_fma_f16 v26, v6, v28, v26
	v_mul_f16_sdwa v28, v6, v28 dst_sel:DWORD dst_unused:UNUSED_PAD src0_sel:WORD_1 src1_sel:DWORD
	v_fma_f16 v51, v51, -0.5, v21
	v_sub_f16_e32 v52, v8, v11
	s_mov_b32 s2, 0xbb9c
	s_movk_i32 s5, 0x3b9c
	v_fma_f16 v6, v6, v67, -v28
	v_mul_f16_sdwa v28, v7, v68 dst_sel:DWORD dst_unused:UNUSED_PAD src0_sel:WORD_1 src1_sel:DWORD
	v_fma_f16 v53, v52, s2, v51
	v_sub_f16_e32 v54, v9, v10
	s_mov_b32 s3, 0xb8b4
	v_sub_f16_e32 v65, v69, v23
	v_sub_f16_e32 v66, v27, v25
	v_fma_f16 v51, v52, s5, v51
	s_movk_i32 s12, 0x38b4
	v_fma_f16 v28, v7, v32, v28
	v_mul_f16_sdwa v32, v7, v32 dst_sel:DWORD dst_unused:UNUSED_PAD src0_sel:WORD_1 src1_sel:DWORD
	v_fma_f16 v53, v54, s3, v53
	v_add_f16_e32 v65, v65, v66
	s_movk_i32 s4, 0x34f2
	v_fma_f16 v51, v54, s12, v51
	v_fma_f16 v7, v7, v68, -v32
	v_add_f16_e32 v32, v21, v69
	v_fma_f16 v53, v65, s4, v53
	v_fma_f16 v51, v65, s4, v51
	v_add_f16_e32 v65, v69, v27
	v_lshrrev_b32_e32 v50, 16, v21
	v_add_f16_e32 v32, v32, v23
	v_fma_f16 v21, v65, -0.5, v21
	v_add_f16_e32 v32, v32, v25
	v_fma_f16 v65, v54, s5, v21
	v_sub_f16_e32 v66, v23, v69
	v_sub_f16_e32 v67, v25, v27
	v_fma_f16 v21, v54, s2, v21
	v_add_f16_e32 v54, v9, v10
	v_add_f16_e32 v32, v32, v27
	v_fma_f16 v65, v52, s3, v65
	v_add_f16_e32 v66, v66, v67
	v_fma_f16 v21, v52, s12, v21
	v_fma_f16 v54, v54, -0.5, v50
	v_sub_f16_e32 v27, v69, v27
	v_fma_f16 v65, v66, s4, v65
	v_fma_f16 v21, v66, s4, v21
	;; [unrolled: 1-line block ×3, first 2 shown]
	v_sub_f16_e32 v23, v23, v25
	v_fma_f16 v25, v23, s12, v66
	v_sub_f16_e32 v66, v8, v9
	v_sub_f16_e32 v67, v11, v10
	v_fma_f16 v54, v27, s2, v54
	v_add_f16_e32 v52, v50, v8
	v_add_f16_e32 v66, v66, v67
	v_fma_f16 v54, v23, s3, v54
	v_add_f16_e32 v52, v52, v9
	v_fma_f16 v25, v66, s4, v25
	v_fma_f16 v54, v66, s4, v54
	v_add_f16_e32 v66, v8, v11
	v_add_f16_e32 v52, v52, v10
	v_fma_f16 v50, v66, -0.5, v50
	v_add_f16_e32 v52, v52, v11
	v_fma_f16 v66, v23, s2, v50
	v_sub_f16_e32 v8, v9, v8
	v_sub_f16_e32 v9, v10, v11
	v_add_f16_e32 v11, v24, v26
	v_fma_f16 v66, v27, s12, v66
	v_add_f16_e32 v8, v8, v9
	v_fma_f16 v10, v23, s5, v50
	v_fma_f16 v11, v11, -0.5, v22
	v_sub_f16_e32 v23, v4, v7
	v_fma_f16 v9, v8, s4, v66
	v_fma_f16 v10, v27, s3, v10
	;; [unrolled: 1-line block ×3, first 2 shown]
	v_sub_f16_e32 v50, v5, v6
	v_sub_f16_e32 v66, v31, v24
	;; [unrolled: 1-line block ×3, first 2 shown]
	v_fma_f16 v11, v23, s5, v11
	v_fma_f16 v27, v50, s3, v27
	v_add_f16_e32 v66, v66, v67
	v_fma_f16 v11, v50, s12, v11
	v_fma_f16 v8, v8, s4, v10
	v_add_f16_e32 v10, v22, v31
	;; [unrolled: 3-line block ×3, first 2 shown]
	v_lshrrev_b32_e32 v64, 16, v22
	v_add_f16_e32 v10, v10, v24
	v_fma_f16 v22, v66, -0.5, v22
	v_add_f16_e32 v10, v10, v26
	v_fma_f16 v66, v50, s5, v22
	v_fma_f16 v22, v50, s2, v22
	v_add_f16_e32 v50, v5, v6
	v_add_f16_e32 v10, v10, v28
	v_sub_f16_e32 v67, v24, v31
	v_sub_f16_e32 v68, v26, v28
	v_fma_f16 v50, v50, -0.5, v64
	v_sub_f16_e32 v28, v31, v28
	v_fma_f16 v66, v23, s3, v66
	v_add_f16_e32 v67, v67, v68
	v_fma_f16 v22, v23, s12, v22
	v_fma_f16 v31, v28, s5, v50
	v_sub_f16_e32 v24, v24, v26
	v_fma_f16 v66, v67, s4, v66
	v_fma_f16 v22, v67, s4, v22
	;; [unrolled: 1-line block ×3, first 2 shown]
	v_sub_f16_e32 v31, v4, v5
	v_sub_f16_e32 v67, v7, v6
	v_fma_f16 v50, v28, s2, v50
	v_add_f16_e32 v31, v31, v67
	v_fma_f16 v50, v24, s3, v50
	v_add_f16_e32 v23, v64, v4
	v_fma_f16 v26, v31, s4, v26
	v_fma_f16 v31, v31, s4, v50
	v_add_f16_e32 v50, v4, v7
	v_add_f16_e32 v23, v23, v5
	v_fma_f16 v50, v50, -0.5, v64
	v_add_f16_e32 v23, v23, v6
	v_fma_f16 v64, v24, s2, v50
	v_sub_f16_e32 v4, v5, v4
	v_sub_f16_e32 v5, v6, v7
	v_fma_f16 v6, v24, s5, v50
	v_fma_f16 v64, v28, s12, v64
	v_add_f16_e32 v4, v4, v5
	v_fma_f16 v6, v28, s3, v6
	v_add_f16_e32 v23, v23, v7
	v_fma_f16 v5, v4, s4, v64
	v_fma_f16 v4, v4, s4, v6
	v_pack_b32_f16 v6, v32, v52
	v_pack_b32_f16 v7, v53, v25
	s_barrier
	ds_write2_b32 v62, v6, v7 offset1:33
	v_pack_b32_f16 v6, v65, v9
	v_pack_b32_f16 v7, v21, v8
	ds_write2_b32 v62, v6, v7 offset0:66 offset1:99
	v_pack_b32_f16 v6, v51, v54
	v_pack_b32_f16 v5, v66, v5
	;; [unrolled: 1-line block ×3, first 2 shown]
	ds_write_b32 v62, v6 offset:528
	v_pack_b32_f16 v6, v10, v23
	v_pack_b32_f16 v7, v27, v26
	ds_write2_b32 v63, v5, v4 offset0:66 offset1:99
	v_pack_b32_f16 v4, v11, v31
	ds_write2_b32 v63, v6, v7 offset1:33
	ds_write_b32 v63, v4 offset:528
	s_and_saveexec_b64 s[0:1], vcc
	s_cbranch_execz .LBB0_17
; %bb.16:
	v_mul_f16_sdwa v4, v1, v57 dst_sel:DWORD dst_unused:UNUSED_PAD src0_sel:WORD_1 src1_sel:DWORD
	v_mul_f16_sdwa v5, v0, v35 dst_sel:DWORD dst_unused:UNUSED_PAD src0_sel:WORD_1 src1_sel:DWORD
	v_mul_f16_sdwa v7, v2, v58 dst_sel:DWORD dst_unused:UNUSED_PAD src0_sel:WORD_1 src1_sel:DWORD
	v_mul_f16_sdwa v8, v3, v56 dst_sel:DWORD dst_unused:UNUSED_PAD src0_sel:WORD_1 src1_sel:DWORD
	v_fma_f16 v4, v1, v60, -v4
	v_fma_f16 v5, v0, v36, -v5
	;; [unrolled: 1-line block ×4, first 2 shown]
	v_sub_f16_e32 v6, v4, v5
	v_sub_f16_e32 v9, v7, v8
	v_add_f16_e32 v6, v6, v9
	v_mul_f16_sdwa v9, v1, v60 dst_sel:DWORD dst_unused:UNUSED_PAD src0_sel:WORD_1 src1_sel:DWORD
	v_fma_f16 v1, v1, v57, v9
	v_mul_f16_sdwa v9, v2, v61 dst_sel:DWORD dst_unused:UNUSED_PAD src0_sel:WORD_1 src1_sel:DWORD
	v_mul_f16_sdwa v21, v0, v36 dst_sel:DWORD dst_unused:UNUSED_PAD src0_sel:WORD_1 src1_sel:DWORD
	v_fma_f16 v2, v2, v58, v9
	v_add_f16_e32 v10, v5, v8
	v_fma_f16 v0, v0, v35, v21
	v_mul_f16_sdwa v21, v3, v59 dst_sel:DWORD dst_unused:UNUSED_PAD src0_sel:WORD_1 src1_sel:DWORD
	v_sub_f16_e32 v9, v1, v2
	v_fma_f16 v10, v10, -0.5, v34
	v_fma_f16 v3, v3, v56, v21
	v_fma_f16 v11, v9, s5, v10
	v_sub_f16_e32 v21, v0, v3
	v_fma_f16 v10, v9, s2, v10
	v_fma_f16 v11, v21, s3, v11
	;; [unrolled: 1-line block ×5, first 2 shown]
	v_sub_f16_e32 v10, v5, v4
	v_sub_f16_e32 v22, v8, v7
	v_add_f16_e32 v10, v10, v22
	v_add_f16_e32 v22, v4, v7
	v_fma_f16 v22, v22, -0.5, v34
	v_fma_f16 v23, v21, s2, v22
	v_fma_f16 v21, v21, s5, v22
	;; [unrolled: 1-line block ×6, first 2 shown]
	v_add_f16_e32 v10, v34, v5
	v_add_f16_e32 v10, v10, v4
	;; [unrolled: 1-line block ×4, first 2 shown]
	v_sub_f16_e32 v5, v5, v8
	v_add_f16_e32 v8, v0, v3
	v_fma_f16 v8, v8, -0.5, v33
	v_sub_f16_e32 v4, v4, v7
	v_sub_f16_e32 v21, v1, v0
	;; [unrolled: 1-line block ×3, first 2 shown]
	v_fma_f16 v7, v4, s2, v8
	v_fma_f16 v8, v4, s5, v8
	v_add_f16_e32 v21, v21, v22
	v_fma_f16 v7, v5, s12, v7
	v_fma_f16 v8, v5, s3, v8
	;; [unrolled: 1-line block ×4, first 2 shown]
	v_sub_f16_e32 v21, v0, v1
	v_sub_f16_e32 v22, v3, v2
	v_add_f16_e32 v21, v21, v22
	v_add_f16_e32 v22, v1, v2
	v_fma_f16 v22, v22, -0.5, v33
	v_add_f16_e32 v0, v33, v0
	v_fma_f16 v24, v5, s5, v22
	v_fma_f16 v5, v5, s2, v22
	v_add_f16_e32 v0, v0, v1
	v_fma_f16 v24, v4, s12, v24
	v_fma_f16 v4, v4, s3, v5
	v_add_f16_e32 v0, v0, v2
	v_fma_f16 v4, v21, s4, v4
	v_add_f16_e32 v0, v0, v3
	v_pack_b32_f16 v0, v0, v10
	v_pack_b32_f16 v1, v4, v9
	v_add_u32_e32 v2, 0x1800, v55
	v_fma_f16 v24, v21, s4, v24
	ds_write2_b32 v2, v0, v1 offset0:114 offset1:147
	v_pack_b32_f16 v0, v8, v6
	v_pack_b32_f16 v1, v7, v11
	ds_write2_b32 v2, v0, v1 offset0:180 offset1:213
	v_pack_b32_f16 v0, v24, v23
	ds_write_b32 v55, v0 offset:7128
.LBB0_17:
	s_or_b64 exec, exec, s[0:1]
	s_waitcnt lgkmcnt(0)
	s_barrier
	ds_read2_b32 v[5:6], v37 offset1:165
	v_add_u32_e32 v4, 0x400, v37
	ds_read2_b32 v[7:8], v4 offset0:74 offset1:239
	v_add_u32_e32 v3, 0xa00, v37
	ds_read2_b32 v[9:10], v3 offset0:20 offset1:185
	s_waitcnt lgkmcnt(2)
	v_lshrrev_b32_e32 v1, 16, v6
	v_mul_f16_sdwa v36, v12, v1 dst_sel:DWORD dst_unused:UNUSED_PAD src0_sel:WORD_1 src1_sel:DWORD
	s_waitcnt lgkmcnt(1)
	v_lshrrev_b32_e32 v11, 16, v7
	v_add_u32_e32 v2, 0xf00, v37
	v_fma_f16 v36, v12, v6, v36
	v_mul_f16_sdwa v6, v12, v6 dst_sel:DWORD dst_unused:UNUSED_PAD src0_sel:WORD_1 src1_sel:DWORD
	ds_read2_b32 v[21:22], v2 offset0:30 offset1:195
	v_fma_f16 v1, v12, v1, -v6
	v_mul_f16_sdwa v6, v13, v11 dst_sel:DWORD dst_unused:UNUSED_PAD src0_sel:WORD_1 src1_sel:DWORD
	v_lshrrev_b32_e32 v25, 16, v8
	s_waitcnt lgkmcnt(1)
	v_lshrrev_b32_e32 v26, 16, v9
	v_add_u32_e32 v0, 0x1400, v37
	v_fma_f16 v6, v13, v7, v6
	v_mul_f16_sdwa v7, v13, v7 dst_sel:DWORD dst_unused:UNUSED_PAD src0_sel:WORD_1 src1_sel:DWORD
	ds_read2_b32 v[23:24], v0 offset0:40 offset1:205
	v_fma_f16 v7, v13, v11, -v7
	v_mul_f16_sdwa v11, v14, v25 dst_sel:DWORD dst_unused:UNUSED_PAD src0_sel:WORD_1 src1_sel:DWORD
	v_mul_f16_sdwa v12, v15, v26 dst_sel:DWORD dst_unused:UNUSED_PAD src0_sel:WORD_1 src1_sel:DWORD
	v_fma_f16 v11, v14, v8, v11
	v_mul_f16_sdwa v8, v14, v8 dst_sel:DWORD dst_unused:UNUSED_PAD src0_sel:WORD_1 src1_sel:DWORD
	v_fma_f16 v12, v15, v9, v12
	v_mul_f16_sdwa v9, v15, v9 dst_sel:DWORD dst_unused:UNUSED_PAD src0_sel:WORD_1 src1_sel:DWORD
	v_lshrrev_b32_e32 v27, 16, v10
	v_fma_f16 v8, v14, v25, -v8
	v_fma_f16 v9, v15, v26, -v9
	v_add_f16_e32 v25, v5, v36
	v_add_f16_sdwa v26, v5, v1 dst_sel:DWORD dst_unused:UNUSED_PAD src0_sel:WORD_1 src1_sel:DWORD
	ds_read_b32 v28, v37 offset:6600
	s_waitcnt lgkmcnt(2)
	v_lshrrev_b32_e32 v31, 16, v21
	v_mul_f16_sdwa v13, v16, v27 dst_sel:DWORD dst_unused:UNUSED_PAD src0_sel:WORD_1 src1_sel:DWORD
	v_add_f16_e32 v25, v25, v6
	v_add_f16_e32 v26, v26, v7
	v_lshrrev_b32_e32 v32, 16, v22
	v_fma_f16 v13, v16, v10, v13
	v_mul_f16_sdwa v10, v16, v10 dst_sel:DWORD dst_unused:UNUSED_PAD src0_sel:WORD_1 src1_sel:DWORD
	v_mul_f16_sdwa v14, v17, v31 dst_sel:DWORD dst_unused:UNUSED_PAD src0_sel:WORD_1 src1_sel:DWORD
	;; [unrolled: 1-line block ×3, first 2 shown]
	v_add_f16_e32 v25, v25, v11
	v_add_f16_e32 v26, v26, v8
	s_waitcnt lgkmcnt(1)
	v_lshrrev_b32_e32 v33, 16, v23
	v_fma_f16 v10, v16, v27, -v10
	v_fma_f16 v14, v17, v21, v14
	v_fma_f16 v15, v17, v31, -v15
	v_mul_f16_sdwa v16, v18, v32 dst_sel:DWORD dst_unused:UNUSED_PAD src0_sel:WORD_1 src1_sel:DWORD
	v_mul_f16_sdwa v17, v18, v22 dst_sel:DWORD dst_unused:UNUSED_PAD src0_sel:WORD_1 src1_sel:DWORD
	v_add_f16_e32 v25, v25, v12
	v_add_f16_e32 v26, v26, v9
	v_lshrrev_b32_e32 v34, 16, v24
	v_fma_f16 v16, v18, v22, v16
	v_fma_f16 v17, v18, v32, -v17
	v_mul_f16_sdwa v18, v19, v33 dst_sel:DWORD dst_unused:UNUSED_PAD src0_sel:WORD_1 src1_sel:DWORD
	v_mul_f16_sdwa v21, v19, v23 dst_sel:DWORD dst_unused:UNUSED_PAD src0_sel:WORD_1 src1_sel:DWORD
	v_add_f16_e32 v25, v25, v13
	v_add_f16_e32 v26, v26, v10
	v_fma_f16 v18, v19, v23, v18
	v_fma_f16 v19, v19, v33, -v21
	v_mul_f16_sdwa v21, v29, v34 dst_sel:DWORD dst_unused:UNUSED_PAD src0_sel:WORD_1 src1_sel:DWORD
	v_add_f16_e32 v25, v25, v14
	v_add_f16_e32 v26, v26, v15
	s_waitcnt lgkmcnt(0)
	v_lshrrev_b32_e32 v35, 16, v28
	v_fma_f16 v21, v29, v24, v21
	v_mul_f16_sdwa v22, v29, v24 dst_sel:DWORD dst_unused:UNUSED_PAD src0_sel:WORD_1 src1_sel:DWORD
	v_mul_f16_sdwa v24, v30, v28 dst_sel:DWORD dst_unused:UNUSED_PAD src0_sel:WORD_1 src1_sel:DWORD
	v_add_f16_e32 v25, v25, v16
	v_add_f16_e32 v26, v26, v17
	v_fma_f16 v22, v29, v34, -v22
	v_mul_f16_sdwa v23, v30, v35 dst_sel:DWORD dst_unused:UNUSED_PAD src0_sel:WORD_1 src1_sel:DWORD
	v_fma_f16 v24, v30, v35, -v24
	v_add_f16_e32 v25, v25, v18
	v_add_f16_e32 v26, v26, v19
	v_fma_f16 v23, v30, v28, v23
	v_add_f16_e32 v25, v25, v21
	v_add_f16_e32 v26, v26, v22
	;; [unrolled: 1-line block ×3, first 2 shown]
	v_sub_f16_e32 v1, v1, v24
	v_add_f16_e32 v25, v25, v23
	v_add_f16_e32 v26, v26, v24
	;; [unrolled: 1-line block ×3, first 2 shown]
	v_sub_f16_e32 v23, v36, v23
	s_mov_b32 s5, 0xb853
	v_mul_f16_e32 v24, 0xb853, v1
	s_movk_i32 s12, 0x3abb
	v_mul_f16_e32 v30, 0x3abb, v28
	s_movk_i32 s13, 0x3853
	s_mov_b32 s1, 0xbb47
	v_mul_f16_e32 v32, 0xbb47, v1
	s_movk_i32 s2, 0x36a6
	v_mul_f16_e32 v34, 0x36a6, v28
	s_movk_i32 s3, 0x3b47
	s_mov_b32 s0, 0xbbeb
	v_mul_f16_e32 v36, 0xbbeb, v1
	s_mov_b32 s4, 0xb08e
	v_mul_f16_e32 v51, 0xb08e, v28
	s_movk_i32 s14, 0x3beb
	s_mov_b32 s15, 0xba0c
	v_mul_f16_e32 v53, 0xba0c, v1
	s_mov_b32 s16, 0xb93d
	v_mul_f16_e32 v55, 0xb93d, v28
	s_movk_i32 s17, 0x3a0c
	s_mov_b32 s18, 0xb482
	v_mul_f16_e32 v1, 0xb482, v1
	s_mov_b32 s19, 0xbbad
	v_mul_f16_e32 v28, 0xbbad, v28
	s_movk_i32 s20, 0x3482
	v_fma_f16 v29, v27, s12, v24
	v_fma_f16 v31, v23, s13, v30
	v_fma_f16 v24, v27, s12, -v24
	v_fma_f16 v30, v23, s5, v30
	v_fma_f16 v33, v27, s2, v32
	v_fma_f16 v35, v23, s3, v34
	v_fma_f16 v32, v27, s2, -v32
	v_fma_f16 v34, v23, s1, v34
	;; [unrolled: 4-line block ×5, first 2 shown]
	v_add_f16_e32 v27, v7, v22
	v_sub_f16_e32 v7, v7, v22
	v_add_f16_e32 v29, v5, v29
	v_add_f16_sdwa v31, v5, v31 dst_sel:DWORD dst_unused:UNUSED_PAD src0_sel:WORD_1 src1_sel:DWORD
	v_add_f16_e32 v24, v5, v24
	v_add_f16_sdwa v30, v5, v30 dst_sel:DWORD dst_unused:UNUSED_PAD src0_sel:WORD_1 src1_sel:DWORD
	;; [unrolled: 2-line block ×10, first 2 shown]
	v_add_f16_e32 v23, v6, v21
	v_sub_f16_e32 v6, v6, v21
	v_mul_f16_e32 v21, 0xbb47, v7
	v_fma_f16 v22, v23, s2, v21
	v_mul_f16_e32 v28, 0x36a6, v27
	v_fma_f16 v21, v23, s2, -v21
	v_add_f16_e32 v22, v22, v29
	v_fma_f16 v29, v6, s3, v28
	v_add_f16_e32 v21, v21, v24
	v_fma_f16 v24, v6, s1, v28
	v_mul_f16_e32 v28, 0xba0c, v7
	v_add_f16_e32 v29, v29, v31
	v_add_f16_e32 v24, v24, v30
	v_fma_f16 v30, v23, s16, v28
	v_mul_f16_e32 v31, 0xb93d, v27
	v_fma_f16 v28, v23, s16, -v28
	v_add_f16_e32 v30, v30, v33
	v_fma_f16 v33, v6, s17, v31
	v_add_f16_e32 v28, v28, v32
	v_fma_f16 v31, v6, s15, v31
	v_mul_f16_e32 v32, 0x3482, v7
	v_add_f16_e32 v33, v33, v35
	v_add_f16_e32 v31, v31, v34
	;; [unrolled: 10-line block ×3, first 2 shown]
	v_fma_f16 v51, v23, s4, v36
	v_mul_f16_e32 v52, 0xb08e, v27
	v_fma_f16 v36, v23, s4, -v36
	v_mul_f16_e32 v7, 0x3853, v7
	v_add_f16_e32 v51, v51, v54
	v_fma_f16 v54, v6, s0, v52
	v_add_f16_e32 v36, v36, v53
	v_fma_f16 v52, v6, s14, v52
	v_fma_f16 v53, v23, s12, v7
	v_mul_f16_e32 v27, 0x3abb, v27
	v_fma_f16 v7, v23, s12, -v7
	v_add_f16_e32 v52, v52, v55
	v_fma_f16 v55, v6, s5, v27
	v_add_f16_e32 v1, v7, v1
	v_fma_f16 v6, v6, s13, v27
	v_add_f16_e32 v7, v8, v19
	v_sub_f16_e32 v8, v8, v19
	v_add_f16_e32 v5, v6, v5
	v_add_f16_e32 v6, v11, v18
	v_sub_f16_e32 v11, v11, v18
	v_mul_f16_e32 v18, 0xbbeb, v8
	v_fma_f16 v19, v6, s4, v18
	v_add_f16_e32 v19, v19, v22
	v_mul_f16_e32 v22, 0xb08e, v7
	v_fma_f16 v18, v6, s4, -v18
	v_fma_f16 v23, v11, s14, v22
	v_add_f16_e32 v18, v18, v21
	v_fma_f16 v21, v11, s0, v22
	v_mul_f16_e32 v22, 0x3482, v8
	v_add_f16_e32 v21, v21, v24
	v_fma_f16 v24, v6, s19, v22
	v_fma_f16 v22, v6, s19, -v22
	v_mul_f16_e32 v27, 0xbbad, v7
	v_add_f16_e32 v22, v22, v28
	v_mul_f16_e32 v28, 0x3b47, v8
	v_add_f16_e32 v23, v23, v29
	v_add_f16_e32 v24, v24, v30
	v_fma_f16 v29, v11, s18, v27
	v_fma_f16 v27, v11, s20, v27
	;; [unrolled: 1-line block ×3, first 2 shown]
	v_fma_f16 v28, v6, s2, -v28
	v_add_f16_e32 v27, v27, v31
	v_mul_f16_e32 v31, 0x36a6, v7
	v_add_f16_e32 v28, v28, v32
	v_mul_f16_e32 v32, 0xb853, v8
	v_add_f16_e32 v29, v29, v33
	v_add_f16_e32 v30, v30, v34
	v_fma_f16 v33, v11, s1, v31
	v_fma_f16 v31, v11, s3, v31
	;; [unrolled: 1-line block ×3, first 2 shown]
	v_fma_f16 v32, v6, s12, -v32
	v_mul_f16_e32 v8, 0xba0c, v8
	v_add_f16_e32 v31, v31, v35
	v_mul_f16_e32 v35, 0x3abb, v7
	v_add_f16_e32 v32, v32, v36
	v_fma_f16 v36, v6, s16, v8
	v_mul_f16_e32 v7, 0xb93d, v7
	v_fma_f16 v6, v6, s16, -v8
	v_add_f16_e32 v34, v34, v51
	v_fma_f16 v51, v11, s17, v7
	v_add_f16_e32 v1, v6, v1
	v_fma_f16 v6, v11, s15, v7
	v_add_f16_e32 v7, v9, v17
	v_sub_f16_e32 v9, v9, v17
	v_add_f16_e32 v33, v33, v50
	v_fma_f16 v50, v11, s13, v35
	v_fma_f16 v35, v11, s5, v35
	v_add_f16_e32 v5, v6, v5
	v_add_f16_e32 v6, v12, v16
	v_mul_f16_e32 v11, 0xba0c, v9
	v_sub_f16_e32 v8, v12, v16
	v_fma_f16 v12, v6, s16, v11
	v_fma_f16 v11, v6, s16, -v11
	v_mul_f16_e32 v16, 0xb93d, v7
	v_add_f16_e32 v11, v11, v18
	v_mul_f16_e32 v18, 0x3beb, v9
	v_add_f16_e32 v12, v12, v19
	v_fma_f16 v17, v8, s17, v16
	v_fma_f16 v16, v8, s15, v16
	;; [unrolled: 1-line block ×3, first 2 shown]
	v_fma_f16 v18, v6, s4, -v18
	v_add_f16_e32 v16, v16, v21
	v_mul_f16_e32 v21, 0xb08e, v7
	v_add_f16_e32 v18, v18, v22
	v_mul_f16_e32 v22, 0xb853, v9
	v_add_f16_e32 v17, v17, v23
	v_add_f16_e32 v19, v19, v24
	v_fma_f16 v23, v8, s0, v21
	v_fma_f16 v21, v8, s14, v21
	v_fma_f16 v24, v6, s12, v22
	v_fma_f16 v22, v6, s12, -v22
	v_add_f16_e32 v21, v21, v27
	v_mul_f16_e32 v27, 0x3abb, v7
	v_add_f16_e32 v22, v22, v28
	v_mul_f16_e32 v28, 0xb482, v9
	v_add_f16_e32 v23, v23, v29
	v_add_f16_e32 v24, v24, v30
	v_fma_f16 v29, v8, s13, v27
	v_fma_f16 v27, v8, s5, v27
	;; [unrolled: 1-line block ×3, first 2 shown]
	v_fma_f16 v28, v6, s19, -v28
	v_mul_f16_e32 v9, 0x3b47, v9
	v_add_f16_e32 v27, v27, v31
	v_mul_f16_e32 v31, 0xbbad, v7
	v_add_f16_e32 v28, v28, v32
	v_fma_f16 v32, v6, s2, v9
	v_mul_f16_e32 v7, 0x36a6, v7
	v_fma_f16 v6, v6, s2, -v9
	v_add_f16_e32 v1, v6, v1
	v_fma_f16 v6, v8, s3, v7
	v_sub_f16_e32 v9, v10, v15
	v_add_f16_e32 v30, v30, v34
	v_fma_f16 v34, v8, s1, v7
	v_add_f16_e32 v5, v6, v5
	v_add_f16_e32 v6, v13, v14
	v_add_f16_e32 v7, v10, v15
	v_mul_f16_e32 v10, 0xb482, v9
	v_add_f16_e32 v29, v29, v33
	v_fma_f16 v33, v8, s20, v31
	v_fma_f16 v31, v8, s18, v31
	v_sub_f16_e32 v8, v13, v14
	v_fma_f16 v13, v6, s19, v10
	v_add_f16_e32 v12, v13, v12
	v_mul_f16_e32 v13, 0xbbad, v7
	v_fma_f16 v10, v6, s19, -v10
	v_fma_f16 v14, v8, s20, v13
	v_add_f16_e32 v10, v10, v11
	v_fma_f16 v11, v8, s18, v13
	v_mul_f16_e32 v13, 0x3853, v9
	v_fma_f16 v15, v6, s12, v13
	v_fma_f16 v13, v6, s12, -v13
	v_add_f16_e32 v11, v11, v16
	v_mul_f16_e32 v16, 0x3abb, v7
	v_add_f16_e32 v13, v13, v18
	v_mul_f16_e32 v18, 0xba0c, v9
	v_add_f16_e32 v14, v14, v17
	v_add_f16_e32 v15, v15, v19
	v_fma_f16 v17, v8, s5, v16
	v_fma_f16 v16, v8, s13, v16
	;; [unrolled: 1-line block ×3, first 2 shown]
	v_fma_f16 v18, v6, s16, -v18
	v_add_f16_e32 v16, v16, v21
	v_mul_f16_e32 v21, 0xb93d, v7
	v_add_f16_e32 v18, v18, v22
	v_mul_f16_e32 v22, 0x3b47, v9
	v_add_f16_e32 v17, v17, v23
	v_add_f16_e32 v19, v19, v24
	v_fma_f16 v23, v8, s17, v21
	v_fma_f16 v21, v8, s15, v21
	;; [unrolled: 1-line block ×3, first 2 shown]
	v_fma_f16 v22, v6, s2, -v22
	v_mul_f16_e32 v9, 0xbbeb, v9
	v_add_f16_e32 v35, v35, v52
	v_add_f16_e32 v21, v21, v27
	v_mul_f16_e32 v27, 0x36a6, v7
	v_add_f16_e32 v22, v22, v28
	v_fma_f16 v28, v6, s4, v9
	v_mul_f16_e32 v7, 0xb08e, v7
	v_fma_f16 v6, v6, s4, -v9
	v_add_f16_e32 v54, v54, v56
	v_add_f16_e32 v53, v53, v57
	;; [unrolled: 1-line block ×5, first 2 shown]
	v_fma_f16 v29, v8, s1, v27
	v_fma_f16 v27, v8, s3, v27
	v_add_f16_e32 v1, v6, v1
	v_fma_f16 v6, v8, s0, v7
	v_add_f16_e32 v50, v50, v54
	v_add_f16_e32 v36, v36, v53
	;; [unrolled: 1-line block ×9, first 2 shown]
	v_fma_f16 v30, v8, s14, v7
	v_pack_b32_f16 v6, v25, v26
	v_pack_b32_f16 v7, v12, v14
	;; [unrolled: 1-line block ×4, first 2 shown]
	v_add_f16_e32 v29, v29, v33
	v_add_f16_e32 v28, v28, v32
	v_add_f16_e32 v30, v30, v34
	ds_write2_b32 v37, v6, v7 offset1:165
	v_pack_b32_f16 v6, v15, v17
	v_pack_b32_f16 v7, v19, v23
	ds_write2_b32 v2, v1, v5 offset0:30 offset1:195
	v_pack_b32_f16 v1, v18, v21
	v_pack_b32_f16 v5, v13, v16
	ds_write2_b32 v4, v6, v7 offset0:74 offset1:239
	;; [unrolled: 3-line block ×3, first 2 shown]
	v_pack_b32_f16 v1, v10, v11
	ds_write2_b32 v3, v6, v7 offset0:20 offset1:185
	ds_write_b32 v37, v1 offset:6600
	s_waitcnt lgkmcnt(0)
	s_barrier
	ds_read2_b32 v[5:6], v37 offset1:165
	s_mov_b32 s2, 0x953a4099
	s_mov_b32 s3, 0x3f420dd2
	v_mad_u64_u32 v[7:8], s[0:1], s10, v20, 0
	s_waitcnt lgkmcnt(0)
	v_lshrrev_b32_e32 v13, 16, v5
	v_mul_f16_sdwa v1, v49, v13 dst_sel:DWORD dst_unused:UNUSED_PAD src0_sel:WORD_1 src1_sel:DWORD
	v_fma_f16 v1, v49, v5, v1
	v_cvt_f32_f16_e32 v1, v1
	s_movk_i32 s4, 0x1ff
	s_movk_i32 s5, 0xffe
	v_mul_f16_sdwa v5, v49, v5 dst_sel:DWORD dst_unused:UNUSED_PAD src0_sel:WORD_1 src1_sel:DWORD
	v_cvt_f64_f32_e32 v[9:10], v1
	v_mov_b32_e32 v1, v8
	v_mad_u64_u32 v[11:12], s[0:1], s11, v20, v[1:2]
	v_mul_f64 v[9:10], v[9:10], s[2:3]
	v_fma_f16 v5, v49, v13, -v5
	v_mov_b32_e32 v8, v11
	v_cvt_f32_f16_e32 v5, v5
	s_movk_i32 s10, 0x40f
	s_mov_b32 s11, 0x8000
	v_lshlrev_b64 v[7:8], 2, v[7:8]
	v_and_or_b32 v1, v10, s4, v9
	v_cmp_ne_u32_e32 vcc, 0, v1
	v_cndmask_b32_e64 v1, 0, 1, vcc
	v_lshrrev_b32_e32 v9, 8, v10
	v_bfe_u32 v11, v10, 20, 11
	v_and_or_b32 v9, v9, s5, v1
	v_sub_u32_e32 v12, 0x3f1, v11
	v_or_b32_e32 v1, 0x1000, v9
	v_med3_i32 v12, v12, 0, 13
	v_lshrrev_b32_e32 v14, v12, v1
	v_lshlrev_b32_e32 v12, v12, v14
	v_cmp_ne_u32_e32 vcc, v12, v1
	v_cndmask_b32_e64 v1, 0, 1, vcc
	v_or_b32_e32 v1, v14, v1
	v_add_u32_e32 v14, 0xfffffc10, v11
	v_lshl_or_b32 v11, v14, 12, v9
	v_cmp_gt_i32_e32 vcc, 1, v14
	v_cndmask_b32_e32 v1, v11, v1, vcc
	v_and_b32_e32 v11, 7, v1
	v_cmp_lt_i32_e32 vcc, 5, v11
	v_cmp_eq_u32_e64 s[0:1], 3, v11
	v_cvt_f64_f32_e32 v[11:12], v5
	v_lshrrev_b32_e32 v1, 2, v1
	s_or_b64 vcc, s[0:1], vcc
	v_addc_co_u32_e32 v13, vcc, 0, v1, vcc
	v_mul_f64 v[11:12], v[11:12], s[2:3]
	v_mov_b32_e32 v1, 0x7c00
	v_cmp_gt_i32_e32 vcc, 31, v14
	v_cndmask_b32_e32 v5, v1, v13, vcc
	v_cmp_ne_u32_e32 vcc, 0, v9
	v_cndmask_b32_e64 v9, 0, 1, vcc
	v_lshl_or_b32 v9, v9, 9, v1
	v_cmp_eq_u32_e32 vcc, s10, v14
	v_cndmask_b32_e32 v5, v5, v9, vcc
	v_lshrrev_b32_e32 v9, 16, v10
	v_and_or_b32 v13, v9, s11, v5
	v_and_or_b32 v5, v12, s4, v11
	v_cmp_ne_u32_e32 vcc, 0, v5
	v_cndmask_b32_e64 v5, 0, 1, vcc
	v_lshrrev_b32_e32 v9, 8, v12
	v_bfe_u32 v10, v12, 20, 11
	v_and_or_b32 v5, v9, s5, v5
	v_sub_u32_e32 v11, 0x3f1, v10
	v_or_b32_e32 v9, 0x1000, v5
	v_med3_i32 v11, v11, 0, 13
	v_lshrrev_b32_e32 v14, v11, v9
	v_lshlrev_b32_e32 v11, v11, v14
	v_cmp_ne_u32_e32 vcc, v11, v9
	v_cndmask_b32_e64 v9, 0, 1, vcc
	v_add_u32_e32 v11, 0xfffffc10, v10
	v_or_b32_e32 v9, v14, v9
	v_lshl_or_b32 v10, v11, 12, v5
	v_cmp_gt_i32_e32 vcc, 1, v11
	v_cndmask_b32_e32 v9, v10, v9, vcc
	v_and_b32_e32 v10, 7, v9
	v_cmp_lt_i32_e32 vcc, 5, v10
	v_cmp_eq_u32_e64 s[0:1], 3, v10
	v_lshrrev_b32_e32 v9, 2, v9
	s_or_b64 vcc, s[0:1], vcc
	v_addc_co_u32_e32 v9, vcc, 0, v9, vcc
	v_cmp_gt_i32_e32 vcc, 31, v11
	v_cndmask_b32_e32 v14, v1, v9, vcc
	v_mad_u64_u32 v[9:10], s[0:1], s8, v47, 0
	v_cmp_ne_u32_e32 vcc, 0, v5
	v_cndmask_b32_e64 v5, 0, 1, vcc
	v_lshl_or_b32 v5, v5, 9, v1
	v_cmp_eq_u32_e32 vcc, s10, v11
	v_cndmask_b32_e32 v14, v14, v5, vcc
	v_mov_b32_e32 v5, v10
	v_mad_u64_u32 v[10:11], s[0:1], s9, v47, v[5:6]
	v_lshrrev_b32_e32 v5, 16, v6
	v_mul_f16_sdwa v11, v48, v5 dst_sel:DWORD dst_unused:UNUSED_PAD src0_sel:WORD_1 src1_sel:DWORD
	v_fma_f16 v11, v48, v6, v11
	v_cvt_f32_f16_e32 v11, v11
	v_lshrrev_b32_e32 v12, 16, v12
	v_and_or_b32 v14, v12, s11, v14
	v_and_b32_e32 v13, 0xffff, v13
	v_cvt_f64_f32_e32 v[11:12], v11
	v_lshl_or_b32 v13, v14, 16, v13
	v_mov_b32_e32 v14, s7
	v_add_co_u32_e32 v15, vcc, s6, v7
	v_mul_f64 v[11:12], v[11:12], s[2:3]
	v_addc_co_u32_e32 v14, vcc, v14, v8, vcc
	v_lshlrev_b64 v[7:8], 2, v[9:10]
	v_mul_f16_sdwa v6, v48, v6 dst_sel:DWORD dst_unused:UNUSED_PAD src0_sel:WORD_1 src1_sel:DWORD
	v_add_co_u32_e32 v7, vcc, v15, v7
	v_addc_co_u32_e32 v8, vcc, v14, v8, vcc
	v_and_or_b32 v9, v12, s4, v11
	v_cmp_ne_u32_e32 vcc, 0, v9
	v_fma_f16 v5, v48, v5, -v6
	v_cndmask_b32_e64 v9, 0, 1, vcc
	v_lshrrev_b32_e32 v10, 8, v12
	v_bfe_u32 v11, v12, 20, 11
	v_cvt_f32_f16_e32 v5, v5
	global_store_dword v[7:8], v13, off
	v_and_or_b32 v9, v10, s5, v9
	v_sub_u32_e32 v13, 0x3f1, v11
	v_or_b32_e32 v10, 0x1000, v9
	v_med3_i32 v13, v13, 0, 13
	v_lshrrev_b32_e32 v14, v13, v10
	v_lshlrev_b32_e32 v13, v13, v14
	v_cvt_f64_f32_e32 v[5:6], v5
	v_cmp_ne_u32_e32 vcc, v13, v10
	v_cndmask_b32_e64 v10, 0, 1, vcc
	v_add_u32_e32 v11, 0xfffffc10, v11
	v_or_b32_e32 v10, v14, v10
	v_lshl_or_b32 v13, v11, 12, v9
	v_cmp_gt_i32_e32 vcc, 1, v11
	v_cndmask_b32_e32 v10, v13, v10, vcc
	v_mul_f64 v[5:6], v[5:6], s[2:3]
	v_and_b32_e32 v13, 7, v10
	v_cmp_lt_i32_e32 vcc, 5, v13
	v_cmp_eq_u32_e64 s[0:1], 3, v13
	v_lshrrev_b32_e32 v10, 2, v10
	s_or_b64 vcc, s[0:1], vcc
	v_addc_co_u32_e32 v10, vcc, 0, v10, vcc
	v_cmp_gt_i32_e32 vcc, 31, v11
	v_cndmask_b32_e32 v10, v1, v10, vcc
	v_cmp_ne_u32_e32 vcc, 0, v9
	v_cndmask_b32_e64 v9, 0, 1, vcc
	v_lshl_or_b32 v9, v9, 9, v1
	v_cmp_eq_u32_e32 vcc, s10, v11
	v_and_or_b32 v5, v6, s4, v5
	v_cndmask_b32_e32 v9, v10, v9, vcc
	v_lshrrev_b32_e32 v10, 16, v12
	v_cmp_ne_u32_e32 vcc, 0, v5
	v_and_or_b32 v9, v10, s11, v9
	v_cndmask_b32_e64 v5, 0, 1, vcc
	v_lshrrev_b32_e32 v10, 8, v6
	v_bfe_u32 v11, v6, 20, 11
	v_and_or_b32 v5, v10, s5, v5
	v_sub_u32_e32 v12, 0x3f1, v11
	v_or_b32_e32 v10, 0x1000, v5
	v_med3_i32 v12, v12, 0, 13
	v_lshrrev_b32_e32 v13, v12, v10
	v_lshlrev_b32_e32 v12, v12, v13
	v_cmp_ne_u32_e32 vcc, v12, v10
	v_cndmask_b32_e64 v10, 0, 1, vcc
	v_add_u32_e32 v11, 0xfffffc10, v11
	v_or_b32_e32 v10, v13, v10
	v_lshl_or_b32 v12, v11, 12, v5
	v_cmp_gt_i32_e32 vcc, 1, v11
	v_cndmask_b32_e32 v10, v12, v10, vcc
	v_and_b32_e32 v12, 7, v10
	v_cmp_lt_i32_e32 vcc, 5, v12
	v_cmp_eq_u32_e64 s[0:1], 3, v12
	v_lshrrev_b32_e32 v10, 2, v10
	s_or_b64 vcc, s[0:1], vcc
	v_addc_co_u32_e32 v10, vcc, 0, v10, vcc
	v_cmp_gt_i32_e32 vcc, 31, v11
	v_cndmask_b32_e32 v10, v1, v10, vcc
	v_cmp_ne_u32_e32 vcc, 0, v5
	ds_read2_b32 v[4:5], v4 offset0:74 offset1:239
	v_cndmask_b32_e64 v12, 0, 1, vcc
	v_lshl_or_b32 v12, v12, 9, v1
	v_cmp_eq_u32_e32 vcc, s10, v11
	v_cndmask_b32_e32 v10, v10, v12, vcc
	s_waitcnt lgkmcnt(0)
	v_lshrrev_b32_e32 v11, 16, v4
	v_mul_f16_sdwa v12, v46, v11 dst_sel:DWORD dst_unused:UNUSED_PAD src0_sel:WORD_1 src1_sel:DWORD
	v_fma_f16 v12, v46, v4, v12
	v_cvt_f32_f16_e32 v12, v12
	v_lshrrev_b32_e32 v6, 16, v6
	v_and_or_b32 v6, v6, s11, v10
	v_and_b32_e32 v9, 0xffff, v9
	v_lshl_or_b32 v13, v6, 16, v9
	v_cvt_f64_f32_e32 v[9:10], v12
	s_mul_i32 s0, s9, 0x294
	s_mul_hi_u32 s6, s8, 0x294
	s_add_i32 s6, s6, s0
	v_mul_f64 v[9:10], v[9:10], s[2:3]
	s_mul_i32 s7, s8, 0x294
	v_mov_b32_e32 v12, s6
	v_add_co_u32_e32 v6, vcc, s7, v7
	v_addc_co_u32_e32 v7, vcc, v8, v12, vcc
	global_store_dword v[6:7], v13, off
	v_and_or_b32 v8, v10, s4, v9
	v_cmp_ne_u32_e32 vcc, 0, v8
	v_cndmask_b32_e64 v8, 0, 1, vcc
	v_lshrrev_b32_e32 v9, 8, v10
	v_and_or_b32 v12, v9, s5, v8
	v_bfe_u32 v9, v10, 20, 11
	v_sub_u32_e32 v13, 0x3f1, v9
	v_or_b32_e32 v8, 0x1000, v12
	v_med3_i32 v13, v13, 0, 13
	v_lshrrev_b32_e32 v14, v13, v8
	v_lshlrev_b32_e32 v13, v13, v14
	v_mul_f16_sdwa v4, v46, v4 dst_sel:DWORD dst_unused:UNUSED_PAD src0_sel:WORD_1 src1_sel:DWORD
	v_cmp_ne_u32_e32 vcc, v13, v8
	v_fma_f16 v4, v46, v11, -v4
	v_cndmask_b32_e64 v8, 0, 1, vcc
	v_add_u32_e32 v13, 0xfffffc10, v9
	v_cvt_f32_f16_e32 v4, v4
	v_or_b32_e32 v8, v14, v8
	v_lshl_or_b32 v9, v13, 12, v12
	v_cmp_gt_i32_e32 vcc, 1, v13
	v_cndmask_b32_e32 v8, v9, v8, vcc
	v_and_b32_e32 v9, 7, v8
	v_cmp_lt_i32_e32 vcc, 5, v9
	v_cmp_eq_u32_e64 s[0:1], 3, v9
	v_lshrrev_b32_e32 v11, 2, v8
	v_cvt_f64_f32_e32 v[8:9], v4
	s_or_b64 vcc, s[0:1], vcc
	v_addc_co_u32_e32 v4, vcc, 0, v11, vcc
	v_mul_f64 v[8:9], v[8:9], s[2:3]
	v_cmp_gt_i32_e32 vcc, 31, v13
	v_cndmask_b32_e32 v4, v1, v4, vcc
	v_cmp_ne_u32_e32 vcc, 0, v12
	v_cndmask_b32_e64 v11, 0, 1, vcc
	v_lshl_or_b32 v11, v11, 9, v1
	v_cmp_eq_u32_e32 vcc, s10, v13
	v_cndmask_b32_e32 v4, v4, v11, vcc
	v_and_or_b32 v8, v9, s4, v8
	v_lshrrev_b32_e32 v10, 16, v10
	v_cmp_ne_u32_e32 vcc, 0, v8
	v_and_or_b32 v4, v10, s11, v4
	v_cndmask_b32_e64 v8, 0, 1, vcc
	v_lshrrev_b32_e32 v10, 8, v9
	v_bfe_u32 v11, v9, 20, 11
	v_and_or_b32 v8, v10, s5, v8
	v_sub_u32_e32 v12, 0x3f1, v11
	v_or_b32_e32 v10, 0x1000, v8
	v_med3_i32 v12, v12, 0, 13
	v_lshrrev_b32_e32 v13, v12, v10
	v_lshlrev_b32_e32 v12, v12, v13
	v_cmp_ne_u32_e32 vcc, v12, v10
	v_cndmask_b32_e64 v10, 0, 1, vcc
	v_add_u32_e32 v11, 0xfffffc10, v11
	v_or_b32_e32 v10, v13, v10
	v_lshl_or_b32 v12, v11, 12, v8
	v_cmp_gt_i32_e32 vcc, 1, v11
	v_cndmask_b32_e32 v10, v12, v10, vcc
	v_and_b32_e32 v12, 7, v10
	v_cmp_lt_i32_e32 vcc, 5, v12
	v_cmp_eq_u32_e64 s[0:1], 3, v12
	v_lshrrev_b32_e32 v12, 16, v5
	v_lshrrev_b32_e32 v10, 2, v10
	s_or_b64 vcc, s[0:1], vcc
	v_mul_f16_sdwa v13, v45, v12 dst_sel:DWORD dst_unused:UNUSED_PAD src0_sel:WORD_1 src1_sel:DWORD
	v_addc_co_u32_e32 v10, vcc, 0, v10, vcc
	v_fma_f16 v13, v45, v5, v13
	v_cmp_gt_i32_e32 vcc, 31, v11
	v_cvt_f32_f16_e32 v13, v13
	v_cndmask_b32_e32 v10, v1, v10, vcc
	v_cmp_ne_u32_e32 vcc, 0, v8
	v_cndmask_b32_e64 v8, 0, 1, vcc
	v_lshl_or_b32 v8, v8, 9, v1
	v_cmp_eq_u32_e32 vcc, s10, v11
	v_cndmask_b32_e32 v8, v10, v8, vcc
	v_cvt_f64_f32_e32 v[10:11], v13
	v_lshrrev_b32_e32 v9, 16, v9
	v_and_or_b32 v13, v9, s11, v8
	v_and_b32_e32 v4, 0xffff, v4
	v_mul_f64 v[8:9], v[10:11], s[2:3]
	v_mov_b32_e32 v10, s6
	v_add_co_u32_e32 v6, vcc, s7, v6
	v_lshl_or_b32 v4, v13, 16, v4
	v_addc_co_u32_e32 v7, vcc, v7, v10, vcc
	global_store_dword v[6:7], v4, off
	v_and_or_b32 v4, v9, s4, v8
	v_cmp_ne_u32_e32 vcc, 0, v4
	v_cndmask_b32_e64 v4, 0, 1, vcc
	v_lshrrev_b32_e32 v8, 8, v9
	v_bfe_u32 v10, v9, 20, 11
	v_and_or_b32 v8, v8, s5, v4
	v_sub_u32_e32 v11, 0x3f1, v10
	v_or_b32_e32 v4, 0x1000, v8
	v_med3_i32 v11, v11, 0, 13
	v_lshrrev_b32_e32 v13, v11, v4
	v_lshlrev_b32_e32 v11, v11, v13
	v_mul_f16_sdwa v5, v45, v5 dst_sel:DWORD dst_unused:UNUSED_PAD src0_sel:WORD_1 src1_sel:DWORD
	v_cmp_ne_u32_e32 vcc, v11, v4
	v_fma_f16 v5, v45, v12, -v5
	v_cndmask_b32_e64 v4, 0, 1, vcc
	v_add_u32_e32 v10, 0xfffffc10, v10
	v_cvt_f32_f16_e32 v5, v5
	v_or_b32_e32 v4, v13, v4
	v_lshl_or_b32 v11, v10, 12, v8
	v_cmp_gt_i32_e32 vcc, 1, v10
	v_cndmask_b32_e32 v4, v11, v4, vcc
	v_and_b32_e32 v11, 7, v4
	v_cmp_lt_i32_e32 vcc, 5, v11
	v_cmp_eq_u32_e64 s[0:1], 3, v11
	v_lshrrev_b32_e32 v11, 2, v4
	v_cvt_f64_f32_e32 v[4:5], v5
	s_or_b64 vcc, s[0:1], vcc
	v_addc_co_u32_e32 v11, vcc, 0, v11, vcc
	v_mul_f64 v[4:5], v[4:5], s[2:3]
	v_cmp_gt_i32_e32 vcc, 31, v10
	v_cndmask_b32_e32 v11, v1, v11, vcc
	v_cmp_ne_u32_e32 vcc, 0, v8
	v_cndmask_b32_e64 v8, 0, 1, vcc
	v_lshl_or_b32 v8, v8, 9, v1
	v_cmp_eq_u32_e32 vcc, s10, v10
	v_cndmask_b32_e32 v8, v11, v8, vcc
	v_and_or_b32 v4, v5, s4, v4
	v_lshrrev_b32_e32 v9, 16, v9
	v_cmp_ne_u32_e32 vcc, 0, v4
	v_and_or_b32 v10, v9, s11, v8
	v_cndmask_b32_e64 v4, 0, 1, vcc
	v_lshrrev_b32_e32 v8, 8, v5
	v_bfe_u32 v9, v5, 20, 11
	v_and_or_b32 v8, v8, s5, v4
	v_sub_u32_e32 v11, 0x3f1, v9
	v_or_b32_e32 v4, 0x1000, v8
	v_med3_i32 v11, v11, 0, 13
	v_lshrrev_b32_e32 v12, v11, v4
	v_lshlrev_b32_e32 v11, v11, v12
	v_cmp_ne_u32_e32 vcc, v11, v4
	v_cndmask_b32_e64 v4, 0, 1, vcc
	v_add_u32_e32 v9, 0xfffffc10, v9
	v_or_b32_e32 v4, v12, v4
	v_lshl_or_b32 v11, v9, 12, v8
	v_cmp_gt_i32_e32 vcc, 1, v9
	v_cndmask_b32_e32 v4, v11, v4, vcc
	v_and_b32_e32 v11, 7, v4
	v_cmp_lt_i32_e32 vcc, 5, v11
	v_cmp_eq_u32_e64 s[0:1], 3, v11
	v_lshrrev_b32_e32 v4, 2, v4
	s_or_b64 vcc, s[0:1], vcc
	v_addc_co_u32_e32 v11, vcc, 0, v4, vcc
	ds_read2_b32 v[3:4], v3 offset0:20 offset1:185
	v_cmp_gt_i32_e32 vcc, 31, v9
	v_cndmask_b32_e32 v11, v1, v11, vcc
	v_cmp_ne_u32_e32 vcc, 0, v8
	v_cndmask_b32_e64 v8, 0, 1, vcc
	s_waitcnt lgkmcnt(0)
	v_lshrrev_b32_e32 v12, 16, v3
	v_mul_f16_sdwa v13, v44, v12 dst_sel:DWORD dst_unused:UNUSED_PAD src0_sel:WORD_1 src1_sel:DWORD
	v_fma_f16 v13, v44, v3, v13
	v_cvt_f32_f16_e32 v13, v13
	v_lshl_or_b32 v8, v8, 9, v1
	v_cmp_eq_u32_e32 vcc, s10, v9
	v_cndmask_b32_e32 v11, v11, v8, vcc
	v_cvt_f64_f32_e32 v[8:9], v13
	v_lshrrev_b32_e32 v5, 16, v5
	v_and_or_b32 v5, v5, s11, v11
	v_and_b32_e32 v10, 0xffff, v10
	v_mul_f64 v[8:9], v[8:9], s[2:3]
	v_lshl_or_b32 v10, v5, 16, v10
	v_mov_b32_e32 v11, s6
	v_add_co_u32_e32 v5, vcc, s7, v6
	v_addc_co_u32_e32 v6, vcc, v7, v11, vcc
	global_store_dword v[5:6], v10, off
	v_and_or_b32 v7, v9, s4, v8
	v_cmp_ne_u32_e32 vcc, 0, v7
	v_cndmask_b32_e64 v7, 0, 1, vcc
	v_lshrrev_b32_e32 v8, 8, v9
	v_and_or_b32 v10, v8, s5, v7
	v_bfe_u32 v8, v9, 20, 11
	v_sub_u32_e32 v11, 0x3f1, v8
	v_or_b32_e32 v7, 0x1000, v10
	v_med3_i32 v11, v11, 0, 13
	v_lshrrev_b32_e32 v13, v11, v7
	v_lshlrev_b32_e32 v11, v11, v13
	v_mul_f16_sdwa v3, v44, v3 dst_sel:DWORD dst_unused:UNUSED_PAD src0_sel:WORD_1 src1_sel:DWORD
	v_cmp_ne_u32_e32 vcc, v11, v7
	v_fma_f16 v3, v44, v12, -v3
	v_cndmask_b32_e64 v7, 0, 1, vcc
	v_add_u32_e32 v11, 0xfffffc10, v8
	v_cvt_f32_f16_e32 v3, v3
	v_or_b32_e32 v7, v13, v7
	v_lshl_or_b32 v8, v11, 12, v10
	v_cmp_gt_i32_e32 vcc, 1, v11
	v_cndmask_b32_e32 v7, v8, v7, vcc
	v_and_b32_e32 v8, 7, v7
	v_cmp_lt_i32_e32 vcc, 5, v8
	v_cmp_eq_u32_e64 s[0:1], 3, v8
	v_lshrrev_b32_e32 v12, 2, v7
	v_cvt_f64_f32_e32 v[7:8], v3
	s_or_b64 vcc, s[0:1], vcc
	v_addc_co_u32_e32 v3, vcc, 0, v12, vcc
	v_mul_f64 v[7:8], v[7:8], s[2:3]
	v_cmp_gt_i32_e32 vcc, 31, v11
	v_cndmask_b32_e32 v3, v1, v3, vcc
	v_cmp_ne_u32_e32 vcc, 0, v10
	v_cndmask_b32_e64 v10, 0, 1, vcc
	v_lshl_or_b32 v10, v10, 9, v1
	v_cmp_eq_u32_e32 vcc, s10, v11
	v_cndmask_b32_e32 v3, v3, v10, vcc
	v_and_or_b32 v7, v8, s4, v7
	v_lshrrev_b32_e32 v9, 16, v9
	v_cmp_ne_u32_e32 vcc, 0, v7
	v_and_or_b32 v3, v9, s11, v3
	v_cndmask_b32_e64 v7, 0, 1, vcc
	v_lshrrev_b32_e32 v9, 8, v8
	v_bfe_u32 v10, v8, 20, 11
	v_and_or_b32 v7, v9, s5, v7
	v_sub_u32_e32 v11, 0x3f1, v10
	v_or_b32_e32 v9, 0x1000, v7
	v_med3_i32 v11, v11, 0, 13
	v_lshrrev_b32_e32 v12, v11, v9
	v_lshlrev_b32_e32 v11, v11, v12
	v_cmp_ne_u32_e32 vcc, v11, v9
	v_cndmask_b32_e64 v9, 0, 1, vcc
	v_add_u32_e32 v10, 0xfffffc10, v10
	v_or_b32_e32 v9, v12, v9
	v_lshl_or_b32 v11, v10, 12, v7
	v_cmp_gt_i32_e32 vcc, 1, v10
	v_cndmask_b32_e32 v9, v11, v9, vcc
	v_and_b32_e32 v11, 7, v9
	v_cmp_lt_i32_e32 vcc, 5, v11
	v_cmp_eq_u32_e64 s[0:1], 3, v11
	v_lshrrev_b32_e32 v11, 16, v4
	v_lshrrev_b32_e32 v9, 2, v9
	s_or_b64 vcc, s[0:1], vcc
	v_mul_f16_sdwa v12, v43, v11 dst_sel:DWORD dst_unused:UNUSED_PAD src0_sel:WORD_1 src1_sel:DWORD
	v_addc_co_u32_e32 v9, vcc, 0, v9, vcc
	v_fma_f16 v12, v43, v4, v12
	v_cmp_gt_i32_e32 vcc, 31, v10
	v_cvt_f32_f16_e32 v12, v12
	v_cndmask_b32_e32 v9, v1, v9, vcc
	v_cmp_ne_u32_e32 vcc, 0, v7
	v_cndmask_b32_e64 v7, 0, 1, vcc
	v_lshl_or_b32 v7, v7, 9, v1
	v_cmp_eq_u32_e32 vcc, s10, v10
	v_cndmask_b32_e32 v7, v9, v7, vcc
	v_cvt_f64_f32_e32 v[9:10], v12
	v_lshrrev_b32_e32 v8, 16, v8
	v_and_or_b32 v12, v8, s11, v7
	v_and_b32_e32 v3, 0xffff, v3
	v_mul_f64 v[7:8], v[9:10], s[2:3]
	v_mov_b32_e32 v9, s6
	v_add_co_u32_e32 v5, vcc, s7, v5
	v_lshl_or_b32 v3, v12, 16, v3
	v_addc_co_u32_e32 v6, vcc, v6, v9, vcc
	global_store_dword v[5:6], v3, off
	v_and_or_b32 v3, v8, s4, v7
	v_cmp_ne_u32_e32 vcc, 0, v3
	v_cndmask_b32_e64 v3, 0, 1, vcc
	v_lshrrev_b32_e32 v7, 8, v8
	v_bfe_u32 v9, v8, 20, 11
	v_and_or_b32 v7, v7, s5, v3
	v_sub_u32_e32 v10, 0x3f1, v9
	v_or_b32_e32 v3, 0x1000, v7
	v_med3_i32 v10, v10, 0, 13
	v_lshrrev_b32_e32 v12, v10, v3
	v_lshlrev_b32_e32 v10, v10, v12
	v_mul_f16_sdwa v4, v43, v4 dst_sel:DWORD dst_unused:UNUSED_PAD src0_sel:WORD_1 src1_sel:DWORD
	v_cmp_ne_u32_e32 vcc, v10, v3
	v_fma_f16 v4, v43, v11, -v4
	v_cndmask_b32_e64 v3, 0, 1, vcc
	v_add_u32_e32 v9, 0xfffffc10, v9
	v_cvt_f32_f16_e32 v4, v4
	v_or_b32_e32 v3, v12, v3
	v_lshl_or_b32 v10, v9, 12, v7
	v_cmp_gt_i32_e32 vcc, 1, v9
	v_cndmask_b32_e32 v3, v10, v3, vcc
	v_and_b32_e32 v10, 7, v3
	v_cmp_lt_i32_e32 vcc, 5, v10
	v_cmp_eq_u32_e64 s[0:1], 3, v10
	v_lshrrev_b32_e32 v10, 2, v3
	v_cvt_f64_f32_e32 v[3:4], v4
	s_or_b64 vcc, s[0:1], vcc
	v_addc_co_u32_e32 v10, vcc, 0, v10, vcc
	v_mul_f64 v[3:4], v[3:4], s[2:3]
	v_cmp_gt_i32_e32 vcc, 31, v9
	v_cndmask_b32_e32 v10, v1, v10, vcc
	v_cmp_ne_u32_e32 vcc, 0, v7
	v_cndmask_b32_e64 v7, 0, 1, vcc
	v_lshl_or_b32 v7, v7, 9, v1
	v_cmp_eq_u32_e32 vcc, s10, v9
	v_cndmask_b32_e32 v7, v10, v7, vcc
	v_and_or_b32 v3, v4, s4, v3
	v_lshrrev_b32_e32 v8, 16, v8
	v_cmp_ne_u32_e32 vcc, 0, v3
	v_and_or_b32 v9, v8, s11, v7
	v_cndmask_b32_e64 v3, 0, 1, vcc
	v_lshrrev_b32_e32 v7, 8, v4
	v_bfe_u32 v8, v4, 20, 11
	v_and_or_b32 v7, v7, s5, v3
	v_sub_u32_e32 v10, 0x3f1, v8
	v_or_b32_e32 v3, 0x1000, v7
	v_med3_i32 v10, v10, 0, 13
	v_lshrrev_b32_e32 v11, v10, v3
	v_lshlrev_b32_e32 v10, v10, v11
	v_cmp_ne_u32_e32 vcc, v10, v3
	v_cndmask_b32_e64 v3, 0, 1, vcc
	v_add_u32_e32 v8, 0xfffffc10, v8
	v_or_b32_e32 v3, v11, v3
	v_lshl_or_b32 v10, v8, 12, v7
	v_cmp_gt_i32_e32 vcc, 1, v8
	v_cndmask_b32_e32 v3, v10, v3, vcc
	v_and_b32_e32 v10, 7, v3
	v_cmp_lt_i32_e32 vcc, 5, v10
	v_cmp_eq_u32_e64 s[0:1], 3, v10
	v_lshrrev_b32_e32 v3, 2, v3
	s_or_b64 vcc, s[0:1], vcc
	v_addc_co_u32_e32 v10, vcc, 0, v3, vcc
	ds_read2_b32 v[2:3], v2 offset0:30 offset1:195
	v_cmp_gt_i32_e32 vcc, 31, v8
	v_cndmask_b32_e32 v10, v1, v10, vcc
	v_cmp_ne_u32_e32 vcc, 0, v7
	v_cndmask_b32_e64 v7, 0, 1, vcc
	s_waitcnt lgkmcnt(0)
	v_lshrrev_b32_e32 v11, 16, v2
	v_mul_f16_sdwa v12, v42, v11 dst_sel:DWORD dst_unused:UNUSED_PAD src0_sel:WORD_1 src1_sel:DWORD
	v_fma_f16 v12, v42, v2, v12
	v_cvt_f32_f16_e32 v12, v12
	v_lshl_or_b32 v7, v7, 9, v1
	v_cmp_eq_u32_e32 vcc, s10, v8
	v_cndmask_b32_e32 v10, v10, v7, vcc
	v_cvt_f64_f32_e32 v[7:8], v12
	v_lshrrev_b32_e32 v4, 16, v4
	v_and_or_b32 v4, v4, s11, v10
	v_and_b32_e32 v9, 0xffff, v9
	v_mul_f64 v[7:8], v[7:8], s[2:3]
	v_lshl_or_b32 v9, v4, 16, v9
	v_mov_b32_e32 v10, s6
	v_add_co_u32_e32 v4, vcc, s7, v5
	v_addc_co_u32_e32 v5, vcc, v6, v10, vcc
	global_store_dword v[4:5], v9, off
	v_and_or_b32 v6, v8, s4, v7
	v_cmp_ne_u32_e32 vcc, 0, v6
	v_cndmask_b32_e64 v6, 0, 1, vcc
	v_lshrrev_b32_e32 v7, 8, v8
	v_and_or_b32 v9, v7, s5, v6
	v_bfe_u32 v7, v8, 20, 11
	v_sub_u32_e32 v10, 0x3f1, v7
	v_or_b32_e32 v6, 0x1000, v9
	v_med3_i32 v10, v10, 0, 13
	v_lshrrev_b32_e32 v12, v10, v6
	v_lshlrev_b32_e32 v10, v10, v12
	v_mul_f16_sdwa v2, v42, v2 dst_sel:DWORD dst_unused:UNUSED_PAD src0_sel:WORD_1 src1_sel:DWORD
	v_cmp_ne_u32_e32 vcc, v10, v6
	v_fma_f16 v2, v42, v11, -v2
	v_cndmask_b32_e64 v6, 0, 1, vcc
	v_add_u32_e32 v10, 0xfffffc10, v7
	v_cvt_f32_f16_e32 v2, v2
	v_or_b32_e32 v6, v12, v6
	v_lshl_or_b32 v7, v10, 12, v9
	v_cmp_gt_i32_e32 vcc, 1, v10
	v_cndmask_b32_e32 v6, v7, v6, vcc
	v_and_b32_e32 v7, 7, v6
	v_cmp_lt_i32_e32 vcc, 5, v7
	v_cmp_eq_u32_e64 s[0:1], 3, v7
	v_lshrrev_b32_e32 v11, 2, v6
	v_cvt_f64_f32_e32 v[6:7], v2
	s_or_b64 vcc, s[0:1], vcc
	v_addc_co_u32_e32 v2, vcc, 0, v11, vcc
	v_mul_f64 v[6:7], v[6:7], s[2:3]
	v_cmp_gt_i32_e32 vcc, 31, v10
	v_cndmask_b32_e32 v2, v1, v2, vcc
	v_cmp_ne_u32_e32 vcc, 0, v9
	v_cndmask_b32_e64 v9, 0, 1, vcc
	v_lshl_or_b32 v9, v9, 9, v1
	v_cmp_eq_u32_e32 vcc, s10, v10
	v_cndmask_b32_e32 v2, v2, v9, vcc
	v_and_or_b32 v6, v7, s4, v6
	v_lshrrev_b32_e32 v8, 16, v8
	v_cmp_ne_u32_e32 vcc, 0, v6
	v_and_or_b32 v2, v8, s11, v2
	v_cndmask_b32_e64 v6, 0, 1, vcc
	v_lshrrev_b32_e32 v8, 8, v7
	v_bfe_u32 v9, v7, 20, 11
	v_and_or_b32 v6, v8, s5, v6
	v_sub_u32_e32 v10, 0x3f1, v9
	v_or_b32_e32 v8, 0x1000, v6
	v_med3_i32 v10, v10, 0, 13
	v_lshrrev_b32_e32 v11, v10, v8
	v_lshlrev_b32_e32 v10, v10, v11
	v_cmp_ne_u32_e32 vcc, v10, v8
	v_cndmask_b32_e64 v8, 0, 1, vcc
	v_add_u32_e32 v9, 0xfffffc10, v9
	v_or_b32_e32 v8, v11, v8
	v_lshl_or_b32 v10, v9, 12, v6
	v_cmp_gt_i32_e32 vcc, 1, v9
	v_cndmask_b32_e32 v8, v10, v8, vcc
	v_and_b32_e32 v10, 7, v8
	v_cmp_lt_i32_e32 vcc, 5, v10
	v_cmp_eq_u32_e64 s[0:1], 3, v10
	v_lshrrev_b32_e32 v10, 16, v3
	v_lshrrev_b32_e32 v8, 2, v8
	s_or_b64 vcc, s[0:1], vcc
	v_mul_f16_sdwa v11, v41, v10 dst_sel:DWORD dst_unused:UNUSED_PAD src0_sel:WORD_1 src1_sel:DWORD
	v_addc_co_u32_e32 v8, vcc, 0, v8, vcc
	v_fma_f16 v11, v41, v3, v11
	v_cmp_gt_i32_e32 vcc, 31, v9
	v_cvt_f32_f16_e32 v11, v11
	v_cndmask_b32_e32 v8, v1, v8, vcc
	v_cmp_ne_u32_e32 vcc, 0, v6
	v_cndmask_b32_e64 v6, 0, 1, vcc
	v_lshl_or_b32 v6, v6, 9, v1
	v_cmp_eq_u32_e32 vcc, s10, v9
	v_cndmask_b32_e32 v6, v8, v6, vcc
	v_cvt_f64_f32_e32 v[8:9], v11
	v_lshrrev_b32_e32 v7, 16, v7
	v_and_or_b32 v11, v7, s11, v6
	v_and_b32_e32 v2, 0xffff, v2
	v_mul_f64 v[6:7], v[8:9], s[2:3]
	v_mov_b32_e32 v8, s6
	v_add_co_u32_e32 v4, vcc, s7, v4
	v_lshl_or_b32 v2, v11, 16, v2
	v_addc_co_u32_e32 v5, vcc, v5, v8, vcc
	global_store_dword v[4:5], v2, off
	v_and_or_b32 v2, v7, s4, v6
	v_cmp_ne_u32_e32 vcc, 0, v2
	v_cndmask_b32_e64 v2, 0, 1, vcc
	v_lshrrev_b32_e32 v6, 8, v7
	v_bfe_u32 v8, v7, 20, 11
	v_and_or_b32 v6, v6, s5, v2
	v_sub_u32_e32 v9, 0x3f1, v8
	v_or_b32_e32 v2, 0x1000, v6
	v_med3_i32 v9, v9, 0, 13
	v_lshrrev_b32_e32 v11, v9, v2
	v_lshlrev_b32_e32 v9, v9, v11
	v_mul_f16_sdwa v3, v41, v3 dst_sel:DWORD dst_unused:UNUSED_PAD src0_sel:WORD_1 src1_sel:DWORD
	v_cmp_ne_u32_e32 vcc, v9, v2
	v_fma_f16 v3, v41, v10, -v3
	v_cndmask_b32_e64 v2, 0, 1, vcc
	v_add_u32_e32 v8, 0xfffffc10, v8
	v_cvt_f32_f16_e32 v3, v3
	v_or_b32_e32 v2, v11, v2
	v_lshl_or_b32 v9, v8, 12, v6
	v_cmp_gt_i32_e32 vcc, 1, v8
	v_cndmask_b32_e32 v2, v9, v2, vcc
	v_and_b32_e32 v9, 7, v2
	v_cmp_lt_i32_e32 vcc, 5, v9
	v_cmp_eq_u32_e64 s[0:1], 3, v9
	v_lshrrev_b32_e32 v9, 2, v2
	v_cvt_f64_f32_e32 v[2:3], v3
	s_or_b64 vcc, s[0:1], vcc
	v_addc_co_u32_e32 v9, vcc, 0, v9, vcc
	v_mul_f64 v[2:3], v[2:3], s[2:3]
	v_cmp_gt_i32_e32 vcc, 31, v8
	v_cndmask_b32_e32 v9, v1, v9, vcc
	v_cmp_ne_u32_e32 vcc, 0, v6
	v_cndmask_b32_e64 v6, 0, 1, vcc
	v_lshl_or_b32 v6, v6, 9, v1
	v_cmp_eq_u32_e32 vcc, s10, v8
	v_cndmask_b32_e32 v6, v9, v6, vcc
	v_and_or_b32 v2, v3, s4, v2
	v_lshrrev_b32_e32 v7, 16, v7
	v_cmp_ne_u32_e32 vcc, 0, v2
	v_and_or_b32 v10, v7, s11, v6
	v_cndmask_b32_e64 v2, 0, 1, vcc
	v_lshrrev_b32_e32 v6, 8, v3
	v_bfe_u32 v7, v3, 20, 11
	v_and_or_b32 v2, v6, s5, v2
	v_sub_u32_e32 v8, 0x3f1, v7
	v_or_b32_e32 v6, 0x1000, v2
	v_med3_i32 v8, v8, 0, 13
	v_lshrrev_b32_e32 v9, v8, v6
	v_lshlrev_b32_e32 v8, v8, v9
	v_cmp_ne_u32_e32 vcc, v8, v6
	v_cndmask_b32_e64 v6, 0, 1, vcc
	v_add_u32_e32 v8, 0xfffffc10, v7
	v_or_b32_e32 v6, v9, v6
	v_lshl_or_b32 v7, v8, 12, v2
	v_cmp_gt_i32_e32 vcc, 1, v8
	v_cndmask_b32_e32 v6, v7, v6, vcc
	v_and_b32_e32 v7, 7, v6
	v_cmp_lt_i32_e32 vcc, 5, v7
	v_cmp_eq_u32_e64 s[0:1], 3, v7
	v_lshrrev_b32_e32 v6, 2, v6
	s_or_b64 vcc, s[0:1], vcc
	v_addc_co_u32_e32 v9, vcc, 0, v6, vcc
	ds_read2_b32 v[6:7], v0 offset0:40 offset1:205
	v_cmp_gt_i32_e32 vcc, 31, v8
	v_cndmask_b32_e32 v0, v1, v9, vcc
	v_cmp_ne_u32_e32 vcc, 0, v2
	v_cndmask_b32_e64 v2, 0, 1, vcc
	s_waitcnt lgkmcnt(0)
	v_lshrrev_b32_e32 v11, 16, v6
	v_mul_f16_sdwa v9, v40, v11 dst_sel:DWORD dst_unused:UNUSED_PAD src0_sel:WORD_1 src1_sel:DWORD
	v_fma_f16 v9, v40, v6, v9
	v_cvt_f32_f16_e32 v9, v9
	v_cmp_eq_u32_e32 vcc, s10, v8
	v_lshl_or_b32 v2, v2, 9, v1
	v_cndmask_b32_e32 v0, v0, v2, vcc
	v_cvt_f64_f32_e32 v[8:9], v9
	v_lshrrev_b32_e32 v2, 16, v3
	v_and_or_b32 v0, v2, s11, v0
	v_and_b32_e32 v10, 0xffff, v10
	v_mul_f64 v[2:3], v[8:9], s[2:3]
	v_mov_b32_e32 v8, s6
	v_add_co_u32_e32 v4, vcc, s7, v4
	v_lshl_or_b32 v0, v0, 16, v10
	v_addc_co_u32_e32 v5, vcc, v5, v8, vcc
	global_store_dword v[4:5], v0, off
	v_and_or_b32 v0, v3, s4, v2
	v_cmp_ne_u32_e32 vcc, 0, v0
	v_cndmask_b32_e64 v0, 0, 1, vcc
	v_lshrrev_b32_e32 v2, 8, v3
	v_bfe_u32 v8, v3, 20, 11
	v_and_or_b32 v0, v2, s5, v0
	v_sub_u32_e32 v9, 0x3f1, v8
	v_or_b32_e32 v2, 0x1000, v0
	v_med3_i32 v9, v9, 0, 13
	v_lshrrev_b32_e32 v10, v9, v2
	v_lshlrev_b32_e32 v9, v9, v10
	v_cmp_ne_u32_e32 vcc, v9, v2
	v_mul_f16_sdwa v6, v40, v6 dst_sel:DWORD dst_unused:UNUSED_PAD src0_sel:WORD_1 src1_sel:DWORD
	v_cndmask_b32_e64 v2, 0, 1, vcc
	v_fma_f16 v6, v40, v11, -v6
	v_or_b32_e32 v2, v10, v2
	v_add_u32_e32 v10, 0xfffffc10, v8
	v_cvt_f32_f16_e32 v6, v6
	v_lshl_or_b32 v8, v10, 12, v0
	v_cmp_gt_i32_e32 vcc, 1, v10
	v_cndmask_b32_e32 v2, v8, v2, vcc
	v_and_b32_e32 v8, 7, v2
	v_cmp_lt_i32_e32 vcc, 5, v8
	v_cmp_eq_u32_e64 s[0:1], 3, v8
	v_cvt_f64_f32_e32 v[8:9], v6
	v_lshrrev_b32_e32 v2, 2, v2
	s_or_b64 vcc, s[0:1], vcc
	v_addc_co_u32_e32 v2, vcc, 0, v2, vcc
	v_mul_f64 v[8:9], v[8:9], s[2:3]
	v_cmp_gt_i32_e32 vcc, 31, v10
	v_cndmask_b32_e32 v2, v1, v2, vcc
	v_cmp_ne_u32_e32 vcc, 0, v0
	v_cndmask_b32_e64 v0, 0, 1, vcc
	v_lshl_or_b32 v0, v0, 9, v1
	v_cmp_eq_u32_e32 vcc, s10, v10
	v_cndmask_b32_e32 v0, v2, v0, vcc
	v_lshrrev_b32_e32 v2, 16, v3
	v_and_or_b32 v0, v2, s11, v0
	v_and_or_b32 v2, v9, s4, v8
	v_cmp_ne_u32_e32 vcc, 0, v2
	v_cndmask_b32_e64 v2, 0, 1, vcc
	v_lshrrev_b32_e32 v3, 8, v9
	v_bfe_u32 v6, v9, 20, 11
	v_and_or_b32 v2, v3, s5, v2
	v_sub_u32_e32 v8, 0x3f1, v6
	v_or_b32_e32 v3, 0x1000, v2
	v_med3_i32 v8, v8, 0, 13
	v_lshrrev_b32_e32 v10, v8, v3
	v_lshlrev_b32_e32 v8, v8, v10
	v_cmp_ne_u32_e32 vcc, v8, v3
	v_cndmask_b32_e64 v3, 0, 1, vcc
	v_add_u32_e32 v6, 0xfffffc10, v6
	v_or_b32_e32 v3, v10, v3
	v_lshl_or_b32 v8, v6, 12, v2
	v_cmp_gt_i32_e32 vcc, 1, v6
	v_cndmask_b32_e32 v3, v8, v3, vcc
	v_and_b32_e32 v8, 7, v3
	v_cmp_lt_i32_e32 vcc, 5, v8
	v_cmp_eq_u32_e64 s[0:1], 3, v8
	v_lshrrev_b32_e32 v8, 16, v7
	v_lshrrev_b32_e32 v3, 2, v3
	s_or_b64 vcc, s[0:1], vcc
	v_mul_f16_sdwa v10, v39, v8 dst_sel:DWORD dst_unused:UNUSED_PAD src0_sel:WORD_1 src1_sel:DWORD
	v_addc_co_u32_e32 v3, vcc, 0, v3, vcc
	v_fma_f16 v10, v39, v7, v10
	v_cmp_gt_i32_e32 vcc, 31, v6
	v_cvt_f32_f16_e32 v10, v10
	v_cndmask_b32_e32 v3, v1, v3, vcc
	v_cmp_ne_u32_e32 vcc, 0, v2
	v_cndmask_b32_e64 v2, 0, 1, vcc
	v_lshl_or_b32 v2, v2, 9, v1
	v_cmp_eq_u32_e32 vcc, s10, v6
	v_cndmask_b32_e32 v6, v3, v2, vcc
	v_cvt_f64_f32_e32 v[2:3], v10
	v_lshrrev_b32_e32 v9, 16, v9
	v_and_or_b32 v6, v9, s11, v6
	v_and_b32_e32 v0, 0xffff, v0
	v_mul_f64 v[2:3], v[2:3], s[2:3]
	v_lshl_or_b32 v0, v6, 16, v0
	v_mov_b32_e32 v6, s6
	v_add_co_u32_e32 v4, vcc, s7, v4
	v_addc_co_u32_e32 v5, vcc, v5, v6, vcc
	global_store_dword v[4:5], v0, off
	v_and_or_b32 v0, v3, s4, v2
	v_cmp_ne_u32_e32 vcc, 0, v0
	v_cndmask_b32_e64 v0, 0, 1, vcc
	v_lshrrev_b32_e32 v2, 8, v3
	v_bfe_u32 v6, v3, 20, 11
	v_and_or_b32 v0, v2, s5, v0
	v_sub_u32_e32 v9, 0x3f1, v6
	v_or_b32_e32 v2, 0x1000, v0
	v_med3_i32 v9, v9, 0, 13
	v_lshrrev_b32_e32 v10, v9, v2
	v_lshlrev_b32_e32 v9, v9, v10
	v_mul_f16_sdwa v7, v39, v7 dst_sel:DWORD dst_unused:UNUSED_PAD src0_sel:WORD_1 src1_sel:DWORD
	v_cmp_ne_u32_e32 vcc, v9, v2
	v_fma_f16 v7, v39, v8, -v7
	v_cndmask_b32_e64 v2, 0, 1, vcc
	v_add_u32_e32 v9, 0xfffffc10, v6
	v_cvt_f32_f16_e32 v7, v7
	v_or_b32_e32 v2, v10, v2
	v_lshl_or_b32 v6, v9, 12, v0
	v_cmp_gt_i32_e32 vcc, 1, v9
	v_cndmask_b32_e32 v2, v6, v2, vcc
	v_and_b32_e32 v6, 7, v2
	v_cmp_lt_i32_e32 vcc, 5, v6
	v_cmp_eq_u32_e64 s[0:1], 3, v6
	v_cvt_f64_f32_e32 v[6:7], v7
	v_lshrrev_b32_e32 v2, 2, v2
	s_or_b64 vcc, s[0:1], vcc
	v_addc_co_u32_e32 v2, vcc, 0, v2, vcc
	v_mul_f64 v[6:7], v[6:7], s[2:3]
	v_cmp_gt_i32_e32 vcc, 31, v9
	v_cndmask_b32_e32 v2, v1, v2, vcc
	v_cmp_ne_u32_e32 vcc, 0, v0
	v_cndmask_b32_e64 v0, 0, 1, vcc
	v_lshl_or_b32 v0, v0, 9, v1
	v_cmp_eq_u32_e32 vcc, s10, v9
	v_cndmask_b32_e32 v0, v2, v0, vcc
	v_lshrrev_b32_e32 v2, 16, v3
	v_and_or_b32 v0, v2, s11, v0
	v_and_or_b32 v2, v7, s4, v6
	v_cmp_ne_u32_e32 vcc, 0, v2
	v_cndmask_b32_e64 v2, 0, 1, vcc
	v_lshrrev_b32_e32 v3, 8, v7
	v_bfe_u32 v6, v7, 20, 11
	v_and_or_b32 v2, v3, s5, v2
	v_sub_u32_e32 v8, 0x3f1, v6
	v_or_b32_e32 v3, 0x1000, v2
	v_med3_i32 v8, v8, 0, 13
	v_lshrrev_b32_e32 v9, v8, v3
	v_lshlrev_b32_e32 v8, v8, v9
	v_cmp_ne_u32_e32 vcc, v8, v3
	v_cndmask_b32_e64 v3, 0, 1, vcc
	v_add_u32_e32 v6, 0xfffffc10, v6
	v_or_b32_e32 v3, v9, v3
	v_lshl_or_b32 v8, v6, 12, v2
	v_cmp_gt_i32_e32 vcc, 1, v6
	v_cndmask_b32_e32 v3, v8, v3, vcc
	v_and_b32_e32 v8, 7, v3
	v_cmp_lt_i32_e32 vcc, 5, v8
	v_cmp_eq_u32_e64 s[0:1], 3, v8
	ds_read_b32 v8, v37 offset:6600
	v_lshrrev_b32_e32 v3, 2, v3
	s_or_b64 vcc, s[0:1], vcc
	v_addc_co_u32_e32 v3, vcc, 0, v3, vcc
	s_waitcnt lgkmcnt(0)
	v_lshrrev_b32_e32 v9, 16, v8
	v_mul_f16_sdwa v10, v38, v9 dst_sel:DWORD dst_unused:UNUSED_PAD src0_sel:WORD_1 src1_sel:DWORD
	v_fma_f16 v10, v38, v8, v10
	v_cmp_gt_i32_e32 vcc, 31, v6
	v_cvt_f32_f16_e32 v10, v10
	v_cndmask_b32_e32 v3, v1, v3, vcc
	v_cmp_ne_u32_e32 vcc, 0, v2
	v_cndmask_b32_e64 v2, 0, 1, vcc
	v_lshl_or_b32 v2, v2, 9, v1
	v_cmp_eq_u32_e32 vcc, s10, v6
	v_cndmask_b32_e32 v6, v3, v2, vcc
	v_cvt_f64_f32_e32 v[2:3], v10
	v_lshrrev_b32_e32 v7, 16, v7
	v_and_or_b32 v6, v7, s11, v6
	v_and_b32_e32 v0, 0xffff, v0
	v_mul_f64 v[2:3], v[2:3], s[2:3]
	v_lshl_or_b32 v0, v6, 16, v0
	v_mov_b32_e32 v6, s6
	v_add_co_u32_e32 v4, vcc, s7, v4
	v_addc_co_u32_e32 v5, vcc, v5, v6, vcc
	global_store_dword v[4:5], v0, off
	v_and_or_b32 v0, v3, s4, v2
	v_cmp_ne_u32_e32 vcc, 0, v0
	v_cndmask_b32_e64 v0, 0, 1, vcc
	v_lshrrev_b32_e32 v2, 8, v3
	v_bfe_u32 v6, v3, 20, 11
	v_and_or_b32 v0, v2, s5, v0
	v_sub_u32_e32 v7, 0x3f1, v6
	v_or_b32_e32 v2, 0x1000, v0
	v_med3_i32 v7, v7, 0, 13
	v_lshrrev_b32_e32 v10, v7, v2
	v_lshlrev_b32_e32 v7, v7, v10
	v_cmp_ne_u32_e32 vcc, v7, v2
	v_mul_f16_sdwa v7, v38, v8 dst_sel:DWORD dst_unused:UNUSED_PAD src0_sel:WORD_1 src1_sel:DWORD
	v_cndmask_b32_e64 v2, 0, 1, vcc
	v_fma_f16 v7, v38, v9, -v7
	v_or_b32_e32 v2, v10, v2
	v_add_u32_e32 v10, 0xfffffc10, v6
	v_cvt_f32_f16_e32 v7, v7
	v_lshl_or_b32 v6, v10, 12, v0
	v_cmp_gt_i32_e32 vcc, 1, v10
	v_cndmask_b32_e32 v2, v6, v2, vcc
	v_and_b32_e32 v6, 7, v2
	v_cmp_lt_i32_e32 vcc, 5, v6
	v_cmp_eq_u32_e64 s[0:1], 3, v6
	v_cvt_f64_f32_e32 v[6:7], v7
	v_lshrrev_b32_e32 v2, 2, v2
	s_or_b64 vcc, s[0:1], vcc
	v_addc_co_u32_e32 v2, vcc, 0, v2, vcc
	v_mul_f64 v[6:7], v[6:7], s[2:3]
	v_cmp_gt_i32_e32 vcc, 31, v10
	v_cndmask_b32_e32 v2, v1, v2, vcc
	v_cmp_ne_u32_e32 vcc, 0, v0
	v_cndmask_b32_e64 v0, 0, 1, vcc
	v_lshl_or_b32 v0, v0, 9, v1
	v_cmp_eq_u32_e32 vcc, s10, v10
	v_cndmask_b32_e32 v0, v2, v0, vcc
	v_lshrrev_b32_e32 v2, 16, v3
	v_and_or_b32 v0, v2, s11, v0
	v_and_or_b32 v2, v7, s4, v6
	v_cmp_ne_u32_e32 vcc, 0, v2
	v_cndmask_b32_e64 v2, 0, 1, vcc
	v_lshrrev_b32_e32 v3, 8, v7
	v_bfe_u32 v6, v7, 20, 11
	v_and_or_b32 v2, v3, s5, v2
	v_sub_u32_e32 v8, 0x3f1, v6
	v_or_b32_e32 v3, 0x1000, v2
	v_med3_i32 v8, v8, 0, 13
	v_lshrrev_b32_e32 v9, v8, v3
	v_lshlrev_b32_e32 v8, v8, v9
	v_cmp_ne_u32_e32 vcc, v8, v3
	v_cndmask_b32_e64 v3, 0, 1, vcc
	v_add_u32_e32 v6, 0xfffffc10, v6
	v_or_b32_e32 v3, v9, v3
	v_lshl_or_b32 v8, v6, 12, v2
	v_cmp_gt_i32_e32 vcc, 1, v6
	v_cndmask_b32_e32 v3, v8, v3, vcc
	v_and_b32_e32 v8, 7, v3
	v_cmp_lt_i32_e32 vcc, 5, v8
	v_cmp_eq_u32_e64 s[0:1], 3, v8
	v_lshrrev_b32_e32 v3, 2, v3
	s_or_b64 vcc, s[0:1], vcc
	v_addc_co_u32_e32 v3, vcc, 0, v3, vcc
	v_cmp_gt_i32_e32 vcc, 31, v6
	v_cndmask_b32_e32 v3, v1, v3, vcc
	v_cmp_ne_u32_e32 vcc, 0, v2
	v_cndmask_b32_e64 v2, 0, 1, vcc
	v_lshl_or_b32 v1, v2, 9, v1
	v_cmp_eq_u32_e32 vcc, s10, v6
	v_cndmask_b32_e32 v1, v3, v1, vcc
	v_lshrrev_b32_e32 v2, 16, v7
	v_and_or_b32 v1, v2, s11, v1
	v_and_b32_e32 v0, 0xffff, v0
	v_lshl_or_b32 v2, v1, 16, v0
	v_mov_b32_e32 v1, s6
	v_add_co_u32_e32 v0, vcc, s7, v4
	v_addc_co_u32_e32 v1, vcc, v5, v1, vcc
	global_store_dword v[0:1], v2, off
.LBB0_18:
	s_endpgm
	.section	.rodata,"a",@progbits
	.p2align	6, 0x0
	.amdhsa_kernel bluestein_single_fwd_len1815_dim1_half_op_CI_CI
		.amdhsa_group_segment_fixed_size 7260
		.amdhsa_private_segment_fixed_size 0
		.amdhsa_kernarg_size 104
		.amdhsa_user_sgpr_count 6
		.amdhsa_user_sgpr_private_segment_buffer 1
		.amdhsa_user_sgpr_dispatch_ptr 0
		.amdhsa_user_sgpr_queue_ptr 0
		.amdhsa_user_sgpr_kernarg_segment_ptr 1
		.amdhsa_user_sgpr_dispatch_id 0
		.amdhsa_user_sgpr_flat_scratch_init 0
		.amdhsa_user_sgpr_private_segment_size 0
		.amdhsa_uses_dynamic_stack 0
		.amdhsa_system_sgpr_private_segment_wavefront_offset 0
		.amdhsa_system_sgpr_workgroup_id_x 1
		.amdhsa_system_sgpr_workgroup_id_y 0
		.amdhsa_system_sgpr_workgroup_id_z 0
		.amdhsa_system_sgpr_workgroup_info 0
		.amdhsa_system_vgpr_workitem_id 0
		.amdhsa_next_free_vgpr 108
		.amdhsa_next_free_sgpr 24
		.amdhsa_reserve_vcc 1
		.amdhsa_reserve_flat_scratch 0
		.amdhsa_float_round_mode_32 0
		.amdhsa_float_round_mode_16_64 0
		.amdhsa_float_denorm_mode_32 3
		.amdhsa_float_denorm_mode_16_64 3
		.amdhsa_dx10_clamp 1
		.amdhsa_ieee_mode 1
		.amdhsa_fp16_overflow 0
		.amdhsa_exception_fp_ieee_invalid_op 0
		.amdhsa_exception_fp_denorm_src 0
		.amdhsa_exception_fp_ieee_div_zero 0
		.amdhsa_exception_fp_ieee_overflow 0
		.amdhsa_exception_fp_ieee_underflow 0
		.amdhsa_exception_fp_ieee_inexact 0
		.amdhsa_exception_int_div_zero 0
	.end_amdhsa_kernel
	.text
.Lfunc_end0:
	.size	bluestein_single_fwd_len1815_dim1_half_op_CI_CI, .Lfunc_end0-bluestein_single_fwd_len1815_dim1_half_op_CI_CI
                                        ; -- End function
	.section	.AMDGPU.csdata,"",@progbits
; Kernel info:
; codeLenInByte = 22740
; NumSgprs: 28
; NumVgprs: 108
; ScratchSize: 0
; MemoryBound: 0
; FloatMode: 240
; IeeeMode: 1
; LDSByteSize: 7260 bytes/workgroup (compile time only)
; SGPRBlocks: 3
; VGPRBlocks: 26
; NumSGPRsForWavesPerEU: 28
; NumVGPRsForWavesPerEU: 108
; Occupancy: 2
; WaveLimiterHint : 1
; COMPUTE_PGM_RSRC2:SCRATCH_EN: 0
; COMPUTE_PGM_RSRC2:USER_SGPR: 6
; COMPUTE_PGM_RSRC2:TRAP_HANDLER: 0
; COMPUTE_PGM_RSRC2:TGID_X_EN: 1
; COMPUTE_PGM_RSRC2:TGID_Y_EN: 0
; COMPUTE_PGM_RSRC2:TGID_Z_EN: 0
; COMPUTE_PGM_RSRC2:TIDIG_COMP_CNT: 0
	.type	__hip_cuid_837f13e735748eee,@object ; @__hip_cuid_837f13e735748eee
	.section	.bss,"aw",@nobits
	.globl	__hip_cuid_837f13e735748eee
__hip_cuid_837f13e735748eee:
	.byte	0                               ; 0x0
	.size	__hip_cuid_837f13e735748eee, 1

	.ident	"AMD clang version 19.0.0git (https://github.com/RadeonOpenCompute/llvm-project roc-6.4.0 25133 c7fe45cf4b819c5991fe208aaa96edf142730f1d)"
	.section	".note.GNU-stack","",@progbits
	.addrsig
	.addrsig_sym __hip_cuid_837f13e735748eee
	.amdgpu_metadata
---
amdhsa.kernels:
  - .args:
      - .actual_access:  read_only
        .address_space:  global
        .offset:         0
        .size:           8
        .value_kind:     global_buffer
      - .actual_access:  read_only
        .address_space:  global
        .offset:         8
        .size:           8
        .value_kind:     global_buffer
      - .actual_access:  read_only
        .address_space:  global
        .offset:         16
        .size:           8
        .value_kind:     global_buffer
      - .actual_access:  read_only
        .address_space:  global
        .offset:         24
        .size:           8
        .value_kind:     global_buffer
      - .actual_access:  read_only
        .address_space:  global
        .offset:         32
        .size:           8
        .value_kind:     global_buffer
      - .offset:         40
        .size:           8
        .value_kind:     by_value
      - .address_space:  global
        .offset:         48
        .size:           8
        .value_kind:     global_buffer
      - .address_space:  global
        .offset:         56
        .size:           8
        .value_kind:     global_buffer
      - .address_space:  global
        .offset:         64
        .size:           8
        .value_kind:     global_buffer
      - .address_space:  global
        .offset:         72
        .size:           8
        .value_kind:     global_buffer
      - .offset:         80
        .size:           4
        .value_kind:     by_value
      - .address_space:  global
        .offset:         88
        .size:           8
        .value_kind:     global_buffer
      - .address_space:  global
        .offset:         96
        .size:           8
        .value_kind:     global_buffer
    .group_segment_fixed_size: 7260
    .kernarg_segment_align: 8
    .kernarg_segment_size: 104
    .language:       OpenCL C
    .language_version:
      - 2
      - 0
    .max_flat_workgroup_size: 165
    .name:           bluestein_single_fwd_len1815_dim1_half_op_CI_CI
    .private_segment_fixed_size: 0
    .sgpr_count:     28
    .sgpr_spill_count: 0
    .symbol:         bluestein_single_fwd_len1815_dim1_half_op_CI_CI.kd
    .uniform_work_group_size: 1
    .uses_dynamic_stack: false
    .vgpr_count:     108
    .vgpr_spill_count: 0
    .wavefront_size: 64
amdhsa.target:   amdgcn-amd-amdhsa--gfx906
amdhsa.version:
  - 1
  - 2
...

	.end_amdgpu_metadata
